;; amdgpu-corpus repo=ROCm/rocFFT kind=compiled arch=gfx1201 opt=O3
	.text
	.amdgcn_target "amdgcn-amd-amdhsa--gfx1201"
	.amdhsa_code_object_version 6
	.protected	bluestein_single_fwd_len2700_dim1_dp_op_CI_CI ; -- Begin function bluestein_single_fwd_len2700_dim1_dp_op_CI_CI
	.globl	bluestein_single_fwd_len2700_dim1_dp_op_CI_CI
	.p2align	8
	.type	bluestein_single_fwd_len2700_dim1_dp_op_CI_CI,@function
bluestein_single_fwd_len2700_dim1_dp_op_CI_CI: ; @bluestein_single_fwd_len2700_dim1_dp_op_CI_CI
; %bb.0:
	s_load_b128 s[16:19], s[0:1], 0x28
	v_mul_u32_u24_e32 v1, 0x2d9, v0
	s_mov_b32 s2, exec_lo
	v_mov_b32_e32 v3, 0
	s_delay_alu instid0(VALU_DEP_2) | instskip(NEXT) | instid1(VALU_DEP_1)
	v_lshrrev_b32_e32 v1, 16, v1
	v_add_nc_u32_e32 v2, ttmp9, v1
	s_wait_kmcnt 0x0
	s_delay_alu instid0(VALU_DEP_1)
	v_cmpx_gt_u64_e64 s[16:17], v[2:3]
	s_cbranch_execz .LBB0_2
; %bb.1:
	s_clause 0x1
	s_load_b128 s[4:7], s[0:1], 0x18
	s_load_b128 s[8:11], s[0:1], 0x0
	v_mul_lo_u16 v1, 0x5a, v1
	s_movk_i32 s2, 0x9520
	s_mov_b32 s3, -1
	s_mov_b32 s22, 0x134454ff
	s_mov_b32 s23, 0x3fee6f0e
	v_sub_nc_u16 v170, v0, v1
	s_mov_b32 s25, 0xbfee6f0e
	s_mov_b32 s24, s22
	;; [unrolled: 1-line block ×3, first 2 shown]
	s_delay_alu instid0(VALU_DEP_1)
	v_dual_mov_b32 v4, v2 :: v_dual_and_b32 v169, 0xffff, v170
	s_mov_b32 s26, 0x9b97f4a8
	s_mov_b32 s27, 0x3fe9e377
	;; [unrolled: 1-line block ×3, first 2 shown]
	scratch_store_b64 off, v[4:5], off offset:4 ; 8-byte Folded Spill
	s_mov_b32 s31, 0xbfe9e377
	s_mov_b32 s30, s26
	s_load_b64 s[0:1], s[0:1], 0x38
	s_wait_kmcnt 0x0
	s_load_b128 s[12:15], s[4:5], 0x0
	v_lshlrev_b32_e32 v148, 4, v169
	global_load_b128 v[60:63], v148, s[8:9]
	s_wait_kmcnt 0x0
	v_mad_co_u64_u32 v[0:1], null, s14, v2, 0
	v_mad_co_u64_u32 v[2:3], null, s12, v169, 0
	s_mul_u64 s[4:5], s[12:13], 0x3840
	s_delay_alu instid0(VALU_DEP_1) | instskip(SKIP_2) | instid1(VALU_DEP_1)
	v_mad_co_u64_u32 v[4:5], null, s15, v4, v[1:2]
	s_mov_b32 s14, 0xe8584caa
	s_mov_b32 s15, 0x3febb67a
	v_mad_co_u64_u32 v[5:6], null, s13, v169, v[3:4]
	v_mov_b32_e32 v1, v4
	s_mul_u64 s[12:13], s[12:13], s[2:3]
	s_delay_alu instid0(VALU_DEP_1) | instskip(NEXT) | instid1(VALU_DEP_3)
	v_lshlrev_b64_e32 v[0:1], 4, v[0:1]
	v_mov_b32_e32 v3, v5
	s_delay_alu instid0(VALU_DEP_2) | instskip(NEXT) | instid1(VALU_DEP_2)
	v_add_co_u32 v0, vcc_lo, s18, v0
	v_lshlrev_b64_e32 v[2:3], 4, v[2:3]
	s_delay_alu instid0(VALU_DEP_4)
	v_add_co_ci_u32_e32 v1, vcc_lo, s19, v1, vcc_lo
	s_mov_b32 s18, 0x372fe950
	s_mov_b32 s19, 0x3fd3c6ef
	s_wait_alu 0xfffe
	s_mov_b32 s28, s18
	v_add_co_u32 v0, vcc_lo, v0, v2
	s_wait_alu 0xfffd
	v_add_co_ci_u32_e32 v1, vcc_lo, v1, v3, vcc_lo
	s_delay_alu instid0(VALU_DEP_2) | instskip(SKIP_1) | instid1(VALU_DEP_2)
	v_add_co_u32 v4, vcc_lo, v0, s4
	s_wait_alu 0xfffd
	v_add_co_ci_u32_e32 v5, vcc_lo, s5, v1, vcc_lo
	global_load_b128 v[0:3], v[0:1], off
	global_load_b128 v[64:67], v148, s[8:9] offset:14400
	global_load_b128 v[26:29], v[4:5], off
	v_add_co_u32 v4, vcc_lo, v4, s4
	s_wait_alu 0xfffd
	v_add_co_ci_u32_e32 v5, vcc_lo, s5, v5, vcc_lo
	global_load_b128 v[68:71], v148, s[8:9] offset:28800
	v_add_co_u32 v6, vcc_lo, v4, s12
	s_wait_alu 0xfffd
	v_add_co_ci_u32_e32 v7, vcc_lo, s13, v5, vcc_lo
	global_load_b128 v[8:11], v[4:5], off
	global_load_b128 v[72:75], v148, s[8:9] offset:1440
	global_load_b128 v[12:15], v[6:7], off
	v_add_co_u32 v4, vcc_lo, v6, s4
	s_wait_alu 0xfffd
	v_add_co_ci_u32_e32 v5, vcc_lo, s5, v7, vcc_lo
	global_load_b128 v[80:83], v148, s[8:9] offset:15840
	v_add_co_u32 v24, vcc_lo, v4, s4
	s_wait_alu 0xfffd
	v_add_co_ci_u32_e32 v25, vcc_lo, s5, v5, vcc_lo
	global_load_b128 v[20:23], v[4:5], off
	global_load_b128 v[76:79], v148, s[8:9] offset:30240
	global_load_b128 v[16:19], v[24:25], off
	v_add_co_u32 v4, vcc_lo, v24, s12
	s_wait_alu 0xfffd
	v_add_co_ci_u32_e32 v5, vcc_lo, s13, v25, vcc_lo
	global_load_b128 v[84:87], v148, s[8:9] offset:2880
	v_add_co_u32 v6, vcc_lo, v4, s4
	s_wait_alu 0xfffd
	v_add_co_ci_u32_e32 v7, vcc_lo, s5, v5, vcc_lo
	global_load_b128 v[30:33], v[4:5], off
	global_load_b128 v[88:91], v148, s[8:9] offset:17280
	global_load_b128 v[34:37], v[6:7], off
	v_add_co_u32 v4, vcc_lo, v6, s4
	s_wait_alu 0xfffd
	v_add_co_ci_u32_e32 v5, vcc_lo, s5, v7, vcc_lo
	global_load_b128 v[92:95], v148, s[8:9] offset:31680
	v_add_co_u32 v6, vcc_lo, v4, s12
	s_wait_alu 0xfffd
	v_add_co_ci_u32_e32 v7, vcc_lo, s13, v5, vcc_lo
	global_load_b128 v[38:41], v[4:5], off
	global_load_b128 v[96:99], v148, s[8:9] offset:4320
	global_load_b128 v[42:45], v[6:7], off
	v_add_co_u32 v4, vcc_lo, v6, s4
	s_wait_alu 0xfffd
	v_add_co_ci_u32_e32 v5, vcc_lo, s5, v7, vcc_lo
	global_load_b128 v[100:103], v148, s[8:9] offset:18720
	v_add_co_u32 v54, vcc_lo, v4, s4
	s_wait_alu 0xfffd
	v_add_co_ci_u32_e32 v55, vcc_lo, s5, v5, vcc_lo
	global_load_b128 v[46:49], v[4:5], off
	global_load_b128 v[104:107], v148, s[8:9] offset:33120
	global_load_b128 v[50:53], v[54:55], off
	s_wait_loadcnt 0x17
	scratch_store_b128 off, v[60:63], off offset:188 ; 16-byte Folded Spill
	s_wait_loadcnt 0x16
	v_mul_f64_e32 v[4:5], v[2:3], v[62:63]
	s_wait_loadcnt 0x15
	scratch_store_b128 off, v[64:67], off offset:172 ; 16-byte Folded Spill
	v_mul_f64_e32 v[6:7], v[0:1], v[62:63]
	s_wait_loadcnt 0x14
	v_mul_f64_e32 v[24:25], v[28:29], v[66:67]
	v_mul_f64_e32 v[56:57], v[26:27], v[66:67]
	s_wait_loadcnt 0x13
	scratch_store_b128 off, v[68:71], off offset:156 ; 16-byte Folded Spill
	s_wait_loadcnt 0x12
	v_mul_f64_e32 v[58:59], v[10:11], v[70:71]
	s_wait_loadcnt 0x11
	scratch_store_b128 off, v[72:75], off offset:140 ; 16-byte Folded Spill
	s_wait_loadcnt 0x10
	;; [unrolled: 4-line block ×3, first 2 shown]
	scratch_store_b128 off, v[76:79], off offset:44 ; 16-byte Folded Spill
	s_wait_loadcnt 0xb
	scratch_store_b128 off, v[84:87], off offset:60 ; 16-byte Folded Spill
	s_wait_loadcnt 0x9
	scratch_store_b128 off, v[88:91], off offset:76 ; 16-byte Folded Spill
	v_fma_f64 v[0:1], v[0:1], v[60:61], v[4:5]
	s_wait_loadcnt 0x7
	scratch_store_b128 off, v[92:95], off offset:92 ; 16-byte Folded Spill
	v_fma_f64 v[2:3], v[2:3], v[60:61], -v[6:7]
	v_mul_f64_e32 v[60:61], v[8:9], v[70:71]
	v_fma_f64 v[24:25], v[26:27], v[64:65], v[24:25]
	v_fma_f64 v[26:27], v[28:29], v[64:65], -v[56:57]
	v_mul_f64_e32 v[28:29], v[12:13], v[74:75]
	v_mul_f64_e32 v[56:57], v[22:23], v[82:83]
	s_wait_loadcnt 0x5
	scratch_store_b128 off, v[96:99], off offset:12 ; 16-byte Folded Spill
	v_fma_f64 v[5:6], v[8:9], v[68:69], v[58:59]
	v_mul_f64_e32 v[58:59], v[20:21], v[82:83]
	s_wait_loadcnt 0x3
	scratch_store_b128 off, v[100:103], off offset:108 ; 16-byte Folded Spill
	s_wait_loadcnt 0x1
	scratch_store_b128 off, v[104:107], off offset:28 ; 16-byte Folded Spill
	v_fma_f64 v[7:8], v[10:11], v[68:69], -v[60:61]
	v_mul_f64_e32 v[60:61], v[18:19], v[78:79]
	v_fma_f64 v[9:10], v[12:13], v[72:73], v[62:63]
	v_fma_f64 v[11:12], v[14:15], v[72:73], -v[28:29]
	v_mul_f64_e32 v[28:29], v[16:17], v[78:79]
	v_mul_f64_e32 v[62:63], v[32:33], v[86:87]
	v_fma_f64 v[20:21], v[20:21], v[80:81], v[56:57]
	v_mul_f64_e32 v[56:57], v[30:31], v[86:87]
	v_fma_f64 v[22:23], v[22:23], v[80:81], -v[58:59]
	v_mul_f64_e32 v[58:59], v[36:37], v[90:91]
	v_fma_f64 v[13:14], v[16:17], v[76:77], v[60:61]
	v_mul_f64_e32 v[60:61], v[40:41], v[94:95]
	v_fma_f64 v[15:16], v[18:19], v[76:77], -v[28:29]
	v_mul_f64_e32 v[17:18], v[34:35], v[90:91]
	v_fma_f64 v[28:29], v[30:31], v[84:85], v[62:63]
	v_fma_f64 v[30:31], v[32:33], v[84:85], -v[56:57]
	v_mul_f64_e32 v[56:57], v[38:39], v[94:95]
	v_mul_f64_e32 v[62:63], v[44:45], v[98:99]
	v_fma_f64 v[32:33], v[34:35], v[88:89], v[58:59]
	v_mul_f64_e32 v[58:59], v[48:49], v[102:103]
	v_fma_f64 v[34:35], v[36:37], v[88:89], -v[17:18]
	v_mul_f64_e32 v[17:18], v[42:43], v[98:99]
	v_fma_f64 v[36:37], v[38:39], v[92:93], v[60:61]
	v_fma_f64 v[38:39], v[40:41], v[92:93], -v[56:57]
	v_mul_f64_e32 v[56:57], v[46:47], v[102:103]
	v_fma_f64 v[40:41], v[42:43], v[96:97], v[62:63]
	v_add_co_u32 v62, vcc_lo, v54, s12
	s_wait_alu 0xfffd
	v_add_co_ci_u32_e32 v63, vcc_lo, s13, v55, vcc_lo
	s_wait_loadcnt 0x0
	v_mul_f64_e32 v[60:61], v[52:53], v[106:107]
	v_fma_f64 v[42:43], v[44:45], v[96:97], -v[17:18]
	v_fma_f64 v[44:45], v[46:47], v[100:101], v[58:59]
	v_mul_f64_e32 v[17:18], v[50:51], v[106:107]
	v_fma_f64 v[46:47], v[48:49], v[100:101], -v[56:57]
	global_load_b128 v[54:57], v[62:63], off
	s_clause 0x1
	global_load_b128 v[64:67], v148, s[8:9] offset:5760
	global_load_b128 v[68:71], v148, s[8:9] offset:7200
	v_fma_f64 v[48:49], v[50:51], v[104:105], v[60:61]
	v_fma_f64 v[50:51], v[52:53], v[104:105], -v[17:18]
	s_wait_loadcnt 0x1
	scratch_store_b128 off, v[64:67], off offset:204 ; 16-byte Folded Spill
	v_mul_f64_e32 v[17:18], v[56:57], v[66:67]
	v_mul_f64_e32 v[58:59], v[54:55], v[66:67]
	s_delay_alu instid0(VALU_DEP_2) | instskip(SKIP_3) | instid1(VALU_DEP_4)
	v_fma_f64 v[52:53], v[54:55], v[64:65], v[17:18]
	v_add_co_u32 v17, vcc_lo, v62, s4
	s_wait_alu 0xfffd
	v_add_co_ci_u32_e32 v18, vcc_lo, s5, v63, vcc_lo
	v_fma_f64 v[54:55], v[56:57], v[64:65], -v[58:59]
	global_load_b128 v[56:59], v[17:18], off
	s_clause 0x1
	global_load_b128 v[64:67], v148, s[8:9] offset:20160
	global_load_b128 v[76:79], v148, s[8:9] offset:21600
	v_add_co_u32 v17, vcc_lo, v17, s4
	s_wait_alu 0xfffd
	v_add_co_ci_u32_e32 v18, vcc_lo, s5, v18, vcc_lo
	s_wait_loadcnt 0x1
	v_mul_f64_e32 v[60:61], v[58:59], v[66:67]
	v_mul_f64_e32 v[62:63], v[56:57], v[66:67]
	scratch_store_b128 off, v[64:67], off offset:220 ; 16-byte Folded Spill
	v_fma_f64 v[56:57], v[56:57], v[64:65], v[60:61]
	v_fma_f64 v[58:59], v[58:59], v[64:65], -v[62:63]
	global_load_b128 v[60:63], v[17:18], off
	global_load_b128 v[72:75], v148, s[8:9] offset:34560
	v_add_co_u32 v17, vcc_lo, v17, s12
	s_wait_alu 0xfffd
	v_add_co_ci_u32_e32 v18, vcc_lo, s13, v18, vcc_lo
	global_load_b128 v[80:83], v148, s[8:9] offset:36000
	s_wait_loadcnt 0x3
	scratch_store_b128 off, v[76:79], off offset:268 ; 16-byte Folded Spill
	s_wait_loadcnt 0x1
	v_mul_f64_e32 v[64:65], v[62:63], v[74:75]
	v_mul_f64_e32 v[66:67], v[60:61], v[74:75]
	scratch_store_b128 off, v[72:75], off offset:236 ; 16-byte Folded Spill
	s_wait_loadcnt 0x0
	scratch_store_b128 off, v[80:83], off offset:284 ; 16-byte Folded Spill
	v_fma_f64 v[60:61], v[60:61], v[72:73], v[64:65]
	v_fma_f64 v[62:63], v[62:63], v[72:73], -v[66:67]
	global_load_b128 v[64:67], v[17:18], off
	v_dual_mov_b32 v75, v71 :: v_dual_mov_b32 v72, v68
	v_dual_mov_b32 v74, v70 :: v_dual_mov_b32 v73, v69
	v_add_co_u32 v17, vcc_lo, v17, s4
	s_wait_alu 0xfffd
	v_add_co_ci_u32_e32 v18, vcc_lo, s5, v18, vcc_lo
	scratch_store_b128 off, v[72:75], off offset:252 ; 16-byte Folded Spill
	s_wait_loadcnt 0x0
	v_mul_f64_e32 v[68:69], v[66:67], v[74:75]
	v_mul_f64_e32 v[70:71], v[64:65], v[74:75]
	s_delay_alu instid0(VALU_DEP_2) | instskip(NEXT) | instid1(VALU_DEP_2)
	v_fma_f64 v[64:65], v[64:65], v[72:73], v[68:69]
	v_fma_f64 v[66:67], v[66:67], v[72:73], -v[70:71]
	global_load_b128 v[68:71], v[17:18], off
	v_add_co_u32 v17, vcc_lo, v17, s4
	s_wait_alu 0xfffd
	v_add_co_ci_u32_e32 v18, vcc_lo, s5, v18, vcc_lo
	s_wait_loadcnt 0x0
	v_mul_f64_e32 v[72:73], v[70:71], v[78:79]
	v_mul_f64_e32 v[74:75], v[68:69], v[78:79]
	s_delay_alu instid0(VALU_DEP_2) | instskip(NEXT) | instid1(VALU_DEP_2)
	v_fma_f64 v[68:69], v[68:69], v[76:77], v[72:73]
	v_fma_f64 v[70:71], v[70:71], v[76:77], -v[74:75]
	global_load_b128 v[72:75], v[17:18], off
	v_add_co_u32 v17, vcc_lo, v17, s12
	s_wait_alu 0xfffd
	v_add_co_ci_u32_e32 v18, vcc_lo, s13, v18, vcc_lo
	s_wait_loadcnt 0x0
	v_mul_f64_e32 v[76:77], v[74:75], v[82:83]
	v_mul_f64_e32 v[78:79], v[72:73], v[82:83]
	s_delay_alu instid0(VALU_DEP_2) | instskip(NEXT) | instid1(VALU_DEP_2)
	v_fma_f64 v[72:73], v[72:73], v[80:81], v[76:77]
	v_fma_f64 v[74:75], v[74:75], v[80:81], -v[78:79]
	global_load_b128 v[76:79], v[17:18], off
	s_clause 0x1
	global_load_b128 v[84:87], v148, s[8:9] offset:8640
	global_load_b128 v[92:95], v148, s[8:9] offset:10080
	v_add_co_u32 v17, vcc_lo, v17, s4
	s_wait_alu 0xfffd
	v_add_co_ci_u32_e32 v18, vcc_lo, s5, v18, vcc_lo
	s_wait_loadcnt 0x1
	v_mul_f64_e32 v[80:81], v[78:79], v[86:87]
	v_mul_f64_e32 v[82:83], v[76:77], v[86:87]
	scratch_store_b128 off, v[84:87], off offset:300 ; 16-byte Folded Spill
	v_fma_f64 v[76:77], v[76:77], v[84:85], v[80:81]
	v_fma_f64 v[78:79], v[78:79], v[84:85], -v[82:83]
	global_load_b128 v[80:83], v[17:18], off
	global_load_b128 v[88:91], v148, s[8:9] offset:23040
	v_add_co_u32 v17, vcc_lo, v17, s4
	s_wait_alu 0xfffd
	v_add_co_ci_u32_e32 v18, vcc_lo, s5, v18, vcc_lo
	global_load_b128 v[100:103], v148, s[8:9] offset:24480
	s_wait_loadcnt 0x1
	v_mul_f64_e32 v[84:85], v[82:83], v[90:91]
	v_mul_f64_e32 v[86:87], v[80:81], v[90:91]
	scratch_store_b128 off, v[88:91], off offset:332 ; 16-byte Folded Spill
	v_fma_f64 v[80:81], v[80:81], v[88:89], v[84:85]
	v_fma_f64 v[82:83], v[82:83], v[88:89], -v[86:87]
	global_load_b128 v[84:87], v[17:18], off
	global_load_b128 v[96:99], v148, s[8:9] offset:37440
	v_add_co_u32 v17, vcc_lo, v17, s12
	s_wait_alu 0xfffd
	v_add_co_ci_u32_e32 v18, vcc_lo, s13, v18, vcc_lo
	global_load_b128 v[104:107], v148, s[8:9] offset:38880
	s_wait_loadcnt 0x3
	scratch_store_b128 off, v[100:103], off offset:380 ; 16-byte Folded Spill
	s_wait_loadcnt 0x1
	v_mul_f64_e32 v[88:89], v[86:87], v[98:99]
	v_mul_f64_e32 v[90:91], v[84:85], v[98:99]
	scratch_store_b128 off, v[96:99], off offset:348 ; 16-byte Folded Spill
	s_wait_loadcnt 0x0
	scratch_store_b128 off, v[104:107], off offset:396 ; 16-byte Folded Spill
	v_fma_f64 v[84:85], v[84:85], v[96:97], v[88:89]
	v_fma_f64 v[86:87], v[86:87], v[96:97], -v[90:91]
	global_load_b128 v[88:91], v[17:18], off
	v_dual_mov_b32 v99, v95 :: v_dual_mov_b32 v96, v92
	v_dual_mov_b32 v98, v94 :: v_dual_mov_b32 v97, v93
	v_add_co_u32 v17, vcc_lo, v17, s4
	s_wait_alu 0xfffd
	v_add_co_ci_u32_e32 v18, vcc_lo, s5, v18, vcc_lo
	scratch_store_b128 off, v[96:99], off offset:364 ; 16-byte Folded Spill
	s_wait_loadcnt 0x0
	v_mul_f64_e32 v[92:93], v[90:91], v[98:99]
	v_mul_f64_e32 v[94:95], v[88:89], v[98:99]
	s_delay_alu instid0(VALU_DEP_2) | instskip(NEXT) | instid1(VALU_DEP_2)
	v_fma_f64 v[88:89], v[88:89], v[96:97], v[92:93]
	v_fma_f64 v[90:91], v[90:91], v[96:97], -v[94:95]
	global_load_b128 v[92:95], v[17:18], off
	v_add_co_u32 v17, vcc_lo, v17, s4
	s_wait_alu 0xfffd
	v_add_co_ci_u32_e32 v18, vcc_lo, s5, v18, vcc_lo
	s_wait_loadcnt 0x0
	v_mul_f64_e32 v[96:97], v[94:95], v[102:103]
	v_mul_f64_e32 v[98:99], v[92:93], v[102:103]
	s_delay_alu instid0(VALU_DEP_2) | instskip(NEXT) | instid1(VALU_DEP_2)
	v_fma_f64 v[92:93], v[92:93], v[100:101], v[96:97]
	v_fma_f64 v[94:95], v[94:95], v[100:101], -v[98:99]
	global_load_b128 v[96:99], v[17:18], off
	v_add_co_u32 v17, vcc_lo, v17, s12
	s_wait_alu 0xfffd
	v_add_co_ci_u32_e32 v18, vcc_lo, s13, v18, vcc_lo
	s_wait_loadcnt 0x0
	v_mul_f64_e32 v[100:101], v[98:99], v[106:107]
	v_mul_f64_e32 v[102:103], v[96:97], v[106:107]
	s_delay_alu instid0(VALU_DEP_2) | instskip(NEXT) | instid1(VALU_DEP_2)
	v_fma_f64 v[96:97], v[96:97], v[104:105], v[100:101]
	v_fma_f64 v[98:99], v[98:99], v[104:105], -v[102:103]
	global_load_b128 v[100:103], v[17:18], off
	global_load_b128 v[108:111], v148, s[8:9] offset:11520
	v_add_co_u32 v17, vcc_lo, v17, s4
	s_wait_alu 0xfffd
	v_add_co_ci_u32_e32 v18, vcc_lo, s5, v18, vcc_lo
	global_load_b128 v[116:119], v148, s[8:9] offset:12960
	s_wait_loadcnt 0x1
	v_mul_f64_e32 v[104:105], v[102:103], v[110:111]
	v_mul_f64_e32 v[106:107], v[100:101], v[110:111]
	scratch_store_b128 off, v[108:111], off offset:412 ; 16-byte Folded Spill
	v_fma_f64 v[100:101], v[100:101], v[108:109], v[104:105]
	v_fma_f64 v[102:103], v[102:103], v[108:109], -v[106:107]
	global_load_b128 v[104:107], v[17:18], off
	global_load_b128 v[112:115], v148, s[8:9] offset:25920
	v_add_co_u32 v17, vcc_lo, v17, s4
	s_wait_alu 0xfffd
	v_add_co_ci_u32_e32 v18, vcc_lo, s5, v18, vcc_lo
	global_load_b128 v[128:131], v148, s[8:9] offset:27360
	s_wait_loadcnt 0x1
	v_mul_f64_e32 v[108:109], v[106:107], v[114:115]
	v_mul_f64_e32 v[110:111], v[104:105], v[114:115]
	scratch_store_b128 off, v[112:115], off offset:428 ; 16-byte Folded Spill
	v_fma_f64 v[104:105], v[104:105], v[112:113], v[108:109]
	v_fma_f64 v[106:107], v[106:107], v[112:113], -v[110:111]
	global_load_b128 v[108:111], v[17:18], off
	global_load_b128 v[120:123], v148, s[8:9] offset:40320
	v_add_co_u32 v17, vcc_lo, v17, s12
	s_wait_alu 0xfffd
	v_add_co_ci_u32_e32 v18, vcc_lo, s13, v18, vcc_lo
	global_load_b128 v[124:127], v148, s[8:9] offset:41760
	s_mov_b32 s13, 0xbfebb67a
	s_mov_b32 s12, s14
	s_wait_loadcnt 0x3
	scratch_store_b128 off, v[128:131], off offset:476 ; 16-byte Folded Spill
	s_wait_loadcnt 0x1
	v_mul_f64_e32 v[112:113], v[110:111], v[122:123]
	v_mul_f64_e32 v[114:115], v[108:109], v[122:123]
	scratch_store_b128 off, v[120:123], off offset:444 ; 16-byte Folded Spill
	v_fma_f64 v[108:109], v[108:109], v[120:121], v[112:113]
	v_fma_f64 v[110:111], v[110:111], v[120:121], -v[114:115]
	global_load_b128 v[112:115], v[17:18], off
	v_dual_mov_b32 v123, v119 :: v_dual_mov_b32 v120, v116
	v_dual_mov_b32 v122, v118 :: v_dual_mov_b32 v121, v117
	v_add_co_u32 v17, vcc_lo, v17, s4
	s_wait_alu 0xfffd
	v_add_co_ci_u32_e32 v18, vcc_lo, s5, v18, vcc_lo
	scratch_store_b128 off, v[120:123], off offset:460 ; 16-byte Folded Spill
	s_wait_loadcnt 0x0
	v_mul_f64_e32 v[116:117], v[114:115], v[122:123]
	v_mul_f64_e32 v[118:119], v[112:113], v[122:123]
	s_delay_alu instid0(VALU_DEP_2) | instskip(NEXT) | instid1(VALU_DEP_2)
	v_fma_f64 v[112:113], v[112:113], v[120:121], v[116:117]
	v_fma_f64 v[114:115], v[114:115], v[120:121], -v[118:119]
	global_load_b128 v[116:119], v[17:18], off
	v_add_co_u32 v17, vcc_lo, v17, s4
	s_wait_alu 0xfffd
	v_add_co_ci_u32_e32 v18, vcc_lo, s5, v18, vcc_lo
	s_wait_loadcnt 0x0
	v_mul_f64_e32 v[120:121], v[118:119], v[130:131]
	v_mul_f64_e32 v[122:123], v[116:117], v[130:131]
	s_delay_alu instid0(VALU_DEP_2) | instskip(NEXT) | instid1(VALU_DEP_2)
	v_fma_f64 v[116:117], v[116:117], v[128:129], v[120:121]
	v_fma_f64 v[118:119], v[118:119], v[128:129], -v[122:123]
	global_load_b128 v[120:123], v[17:18], off
	v_mov_b32_e32 v129, v127
	v_dual_mov_b32 v128, v126 :: v_dual_mov_b32 v127, v125
	v_mov_b32_e32 v126, v124
	scratch_store_b128 off, v[126:129], off offset:316 ; 16-byte Folded Spill
	s_wait_loadcnt 0x0
	v_mul_f64_e32 v[17:18], v[122:123], v[128:129]
	v_mul_f64_e32 v[124:125], v[120:121], v[128:129]
	s_delay_alu instid0(VALU_DEP_2) | instskip(NEXT) | instid1(VALU_DEP_2)
	v_fma_f64 v[120:121], v[120:121], v[126:127], v[17:18]
	v_fma_f64 v[122:123], v[122:123], v[126:127], -v[124:125]
	ds_store_b128 v148, v[0:3]
	ds_store_b128 v148, v[24:27] offset:14400
	ds_store_b128 v148, v[5:8] offset:28800
	;; [unrolled: 1-line block ×29, first 2 shown]
	s_load_b128 s[4:7], s[6:7], 0x0
	global_wb scope:SCOPE_SE
	s_wait_storecnt_dscnt 0x0
	s_wait_kmcnt 0x0
	s_barrier_signal -1
	s_barrier_wait -1
	global_inv scope:SCOPE_SE
	ds_load_b128 v[28:31], v148
	ds_load_b128 v[0:3], v148 offset:14400
	ds_load_b128 v[32:35], v148 offset:12960
	;; [unrolled: 1-line block ×5, first 2 shown]
	s_mul_u64 s[2:3], s[4:5], s[2:3]
	s_wait_dscnt 0x4
	v_add_f64_e32 v[9:10], v[28:29], v[0:1]
	v_add_f64_e32 v[11:12], v[30:31], v[2:3]
	s_wait_dscnt 0x1
	v_add_f64_e32 v[132:133], v[0:1], v[5:6]
	v_add_f64_e64 v[36:37], v[2:3], -v[7:8]
	v_add_f64_e32 v[134:135], v[2:3], v[7:8]
	v_add_f64_e64 v[38:39], v[0:1], -v[5:6]
	s_wait_dscnt 0x0
	v_add_f64_e32 v[165:166], v[60:61], v[24:25]
	v_add_f64_e32 v[167:168], v[62:63], v[26:27]
	v_add_f64_e64 v[110:111], v[60:61], -v[24:25]
	v_add_f64_e32 v[92:93], v[9:10], v[5:6]
	v_add_f64_e32 v[94:95], v[11:12], v[7:8]
	ds_load_b128 v[0:3], v148 offset:15840
	ds_load_b128 v[64:67], v148 offset:1440
	;; [unrolled: 1-line block ×6, first 2 shown]
	s_wait_dscnt 0x4
	v_add_f64_e32 v[17:18], v[64:65], v[0:1]
	v_add_f64_e32 v[19:20], v[66:67], v[2:3]
	s_wait_dscnt 0x1
	v_add_f64_e32 v[136:137], v[0:1], v[9:10]
	v_add_f64_e64 v[40:41], v[2:3], -v[11:12]
	v_add_f64_e32 v[138:139], v[2:3], v[11:12]
	v_add_f64_e64 v[42:43], v[0:1], -v[9:10]
	v_add_f64_e32 v[0:1], v[68:69], v[5:6]
	v_add_f64_e32 v[2:3], v[70:71], v[7:8]
	s_wait_dscnt 0x0
	v_add_f64_e32 v[140:141], v[5:6], v[13:14]
	v_add_f64_e64 v[44:45], v[7:8], -v[15:16]
	v_add_f64_e32 v[142:143], v[7:8], v[15:16]
	v_add_f64_e64 v[46:47], v[5:6], -v[13:14]
	v_add_f64_e32 v[88:89], v[17:18], v[9:10]
	v_add_f64_e32 v[90:91], v[19:20], v[11:12]
	;; [unrolled: 1-line block ×4, first 2 shown]
	ds_load_b128 v[0:3], v148 offset:18720
	ds_load_b128 v[72:75], v148 offset:4320
	ds_load_b128 v[76:79], v148 offset:5760
	ds_load_b128 v[5:8], v148 offset:20160
	ds_load_b128 v[9:12], v148 offset:33120
	ds_load_b128 v[13:16], v148 offset:34560
	s_wait_dscnt 0x4
	v_add_f64_e32 v[17:18], v[72:73], v[0:1]
	v_add_f64_e32 v[19:20], v[74:75], v[2:3]
	s_wait_dscnt 0x1
	v_add_f64_e32 v[149:150], v[0:1], v[9:10]
	v_add_f64_e64 v[48:49], v[2:3], -v[11:12]
	v_add_f64_e32 v[151:152], v[2:3], v[11:12]
	v_add_f64_e64 v[50:51], v[0:1], -v[9:10]
	s_wait_dscnt 0x0
	v_add_f64_e32 v[153:154], v[5:6], v[13:14]
	v_add_f64_e64 v[52:53], v[7:8], -v[15:16]
	v_add_f64_e32 v[155:156], v[7:8], v[15:16]
	v_add_f64_e64 v[54:55], v[5:6], -v[13:14]
	v_add_f64_e32 v[0:1], v[17:18], v[9:10]
	v_add_f64_e32 v[2:3], v[19:20], v[11:12]
	;; [unrolled: 1-line block ×4, first 2 shown]
	s_delay_alu instid0(VALU_DEP_2) | instskip(NEXT) | instid1(VALU_DEP_2)
	v_add_f64_e32 v[112:113], v[9:10], v[13:14]
	v_add_f64_e32 v[114:115], v[11:12], v[15:16]
	ds_load_b128 v[5:8], v148 offset:21600
	ds_load_b128 v[80:83], v148 offset:7200
	;; [unrolled: 1-line block ×6, first 2 shown]
	s_wait_dscnt 0x4
	v_add_f64_e32 v[9:10], v[80:81], v[5:6]
	v_add_f64_e32 v[96:97], v[82:83], v[7:8]
	s_wait_dscnt 0x1
	v_add_f64_e32 v[157:158], v[5:6], v[16:17]
	v_add_f64_e64 v[56:57], v[7:8], -v[18:19]
	v_add_f64_e32 v[159:160], v[7:8], v[18:19]
	v_add_f64_e64 v[58:59], v[5:6], -v[16:17]
	v_add_f64_e32 v[4:5], v[120:121], v[12:13]
	v_add_f64_e32 v[6:7], v[122:123], v[14:15]
	s_wait_dscnt 0x0
	v_add_f64_e32 v[161:162], v[12:13], v[20:21]
	v_add_f64_e64 v[98:99], v[12:13], -v[20:21]
	v_add_f64_e32 v[8:9], v[9:10], v[16:17]
	v_add_f64_e32 v[10:11], v[96:97], v[18:19]
	ds_load_b128 v[16:19], v148 offset:24480
	ds_load_b128 v[124:127], v148 offset:10080
	;; [unrolled: 1-line block ×4, first 2 shown]
	v_add_f64_e64 v[96:97], v[14:15], -v[22:23]
	v_add_f64_e32 v[14:15], v[14:15], v[22:23]
	v_add_f64_e32 v[144:145], v[4:5], v[20:21]
	;; [unrolled: 1-line block ×3, first 2 shown]
	ds_load_b128 v[20:23], v148 offset:38880
	ds_load_b128 v[116:119], v148 offset:40320
	s_wait_dscnt 0x4
	v_add_f64_e32 v[4:5], v[124:125], v[16:17]
	v_add_f64_e32 v[6:7], v[126:127], v[18:19]
	s_wait_dscnt 0x1
	v_add_f64_e32 v[12:13], v[16:17], v[20:21]
	v_add_f64_e64 v[100:101], v[18:19], -v[22:23]
	v_add_f64_e32 v[163:164], v[18:19], v[22:23]
	v_add_f64_e64 v[102:103], v[16:17], -v[20:21]
	s_wait_dscnt 0x0
	v_add_f64_e32 v[16:17], v[106:107], v[116:117]
	v_add_f64_e64 v[104:105], v[108:109], -v[118:119]
	v_fma_f64 v[14:15], v[14:15], -0.5, v[122:123]
	v_add_f64_e32 v[18:19], v[4:5], v[20:21]
	v_add_f64_e32 v[20:21], v[6:7], v[22:23]
	;; [unrolled: 1-line block ×5, first 2 shown]
	v_add_f64_e64 v[106:107], v[106:107], -v[116:117]
	v_add_f64_e64 v[108:109], v[62:63], -v[26:27]
	v_fma_f64 v[16:17], v[16:17], -0.5, v[128:129]
	v_add_f64_e32 v[116:117], v[4:5], v[116:117]
	v_add_f64_e32 v[118:119], v[6:7], v[118:119]
	;; [unrolled: 1-line block ×4, first 2 shown]
	v_fma_f64 v[60:61], v[140:141], -0.5, v[68:69]
	v_fma_f64 v[62:63], v[142:143], -0.5, v[70:71]
	;; [unrolled: 1-line block ×8, first 2 shown]
	v_add_f64_e32 v[24:25], v[4:5], v[24:25]
	v_add_f64_e32 v[26:27], v[6:7], v[26:27]
	v_fma_f64 v[4:5], v[132:133], -0.5, v[28:29]
	v_fma_f64 v[6:7], v[134:135], -0.5, v[30:31]
	;; [unrolled: 1-line block ×9, first 2 shown]
	v_fma_f64 v[136:137], v[44:45], s[14:15], v[60:61]
	v_fma_f64 v[138:139], v[46:47], s[12:13], v[62:63]
	;; [unrolled: 1-line block ×10, first 2 shown]
	v_fma_f64 v[159:160], v[165:166], -0.5, v[32:33]
	v_fma_f64 v[34:35], v[110:111], s[12:13], v[161:162]
	v_fma_f64 v[120:121], v[36:37], s[14:15], v[4:5]
	;; [unrolled: 1-line block ×9, first 2 shown]
	v_mul_lo_u16 v4, v170, 3
	v_add_co_u32 v6, null, 0x5a, v169
	v_fma_f64 v[80:81], v[48:49], s[14:15], v[64:65]
	v_fma_f64 v[82:83], v[50:51], s[12:13], v[66:67]
	s_delay_alu instid0(VALU_DEP_4)
	v_and_b32_e32 v4, 0xffff, v4
	v_fma_f64 v[76:77], v[48:49], s[12:13], v[64:65]
	v_fma_f64 v[78:79], v[50:51], s[14:15], v[66:67]
	v_fma_f64 v[66:67], v[58:59], s[12:13], v[151:152]
	v_fma_f64 v[62:63], v[58:59], s[14:15], v[151:152]
	v_lshlrev_b32_e32 v4, 4, v4
	v_fma_f64 v[58:59], v[98:99], s[12:13], v[14:15]
	v_fma_f64 v[50:51], v[98:99], s[14:15], v[14:15]
	;; [unrolled: 1-line block ×4, first 2 shown]
	scratch_store_b32 off, v4, off offset:496 ; 4-byte Folded Spill
	global_wb scope:SCOPE_SE
	s_wait_storecnt 0x0
	s_barrier_signal -1
	s_barrier_wait -1
	global_inv scope:SCOPE_SE
	ds_store_b128 v4, v[92:95]
	ds_store_b128 v4, v[120:123] offset:16
	ds_store_b128 v4, v[124:127] offset:32
	v_mov_b32_e32 v127, v170
	v_mul_u32_u24_e32 v4, 3, v6
	v_add_co_u32 v102, null, 0xb4, v169
	v_mov_b32_e32 v101, v6
	v_add_co_u32 v5, s16, 0x10e, v169
	s_delay_alu instid0(VALU_DEP_4)
	v_lshlrev_b32_e32 v4, 4, v4
	v_fma_f64 v[64:65], v[56:57], s[14:15], v[149:150]
	v_fma_f64 v[60:61], v[56:57], s[12:13], v[149:150]
	;; [unrolled: 1-line block ×4, first 2 shown]
	scratch_store_b32 off, v4, off offset:500 ; 4-byte Folded Spill
	ds_store_b128 v4, v[88:91]
	ds_store_b128 v4, v[128:131] offset:16
	ds_store_b128 v4, v[132:135] offset:32
	v_mul_u32_u24_e32 v4, 3, v102
	v_fma_f64 v[40:41], v[104:105], s[14:15], v[16:17]
	v_fma_f64 v[42:43], v[106:107], s[12:13], v[22:23]
	;; [unrolled: 1-line block ×4, first 2 shown]
	v_lshlrev_b32_e32 v4, 4, v4
	v_fma_f64 v[32:33], v[108:109], s[14:15], v[159:160]
	v_fma_f64 v[28:29], v[108:109], s[12:13], v[159:160]
	;; [unrolled: 1-line block ×3, first 2 shown]
	v_cmp_gt_u16_e32 vcc_lo, 30, v127
	scratch_store_b32 off, v4, off offset:492 ; 4-byte Folded Spill
	ds_store_b128 v4, v[84:87]
	ds_store_b128 v4, v[136:139] offset:16
	ds_store_b128 v4, v[140:143] offset:32
	s_wait_alu 0xf1ff
	v_add_co_ci_u32_e64 v4, null, 0, 0, s16
	s_clause 0x1
	scratch_store_b32 off, v5, off offset:584
	scratch_store_b32 off, v4, off offset:504
	v_mul_u32_u24_e32 v4, 3, v5
	s_delay_alu instid0(VALU_DEP_1)
	v_lshlrev_b32_e32 v4, 4, v4
	scratch_store_b32 off, v4, off offset:1736 ; 4-byte Folded Spill
	ds_store_b128 v4, v[0:3]
	ds_store_b128 v4, v[80:83] offset:16
	ds_store_b128 v4, v[76:79] offset:32
	v_add_nc_u32_e32 v0, 0x168, v169
	s_clause 0x1
	scratch_store_b32 off, v169, off
	scratch_store_b32 off, v0, off offset:616
	v_mul_u32_u24_e32 v0, 3, v0
	s_delay_alu instid0(VALU_DEP_1)
	v_lshlrev_b32_e32 v0, 4, v0
	scratch_store_b32 off, v0, off offset:1732 ; 4-byte Folded Spill
	ds_store_b128 v0, v[112:115]
	ds_store_b128 v0, v[72:75] offset:16
	ds_store_b128 v0, v[68:71] offset:32
	v_add_nc_u32_e32 v0, 0x1c2, v169
	scratch_store_b32 off, v0, off offset:648 ; 4-byte Folded Spill
	v_mul_u32_u24_e32 v0, 3, v0
	s_delay_alu instid0(VALU_DEP_1)
	v_lshlrev_b32_e32 v0, 4, v0
	scratch_store_b32 off, v0, off offset:1728 ; 4-byte Folded Spill
	ds_store_b128 v0, v[8:11]
	ds_store_b128 v0, v[64:67] offset:16
	ds_store_b128 v0, v[60:63] offset:32
	v_add_co_u32 v0, null, 0x21c, v169
	scratch_store_b32 off, v0, off offset:680 ; 4-byte Folded Spill
	v_mul_u32_u24_e32 v0, 3, v0
	s_delay_alu instid0(VALU_DEP_1)
	v_lshlrev_b32_e32 v0, 4, v0
	scratch_store_b32 off, v0, off offset:1724 ; 4-byte Folded Spill
	ds_store_b128 v0, v[144:147]
	ds_store_b128 v0, v[56:59] offset:16
	ds_store_b128 v0, v[48:51] offset:32
	v_add_co_u32 v0, null, 0x276, v169
	;; [unrolled: 9-line block ×4, first 2 shown]
	scratch_store_b32 off, v0, off offset:776 ; 4-byte Folded Spill
	v_mul_u32_u24_e32 v0, 3, v0
	s_delay_alu instid0(VALU_DEP_1)
	v_lshlrev_b32_e32 v0, 4, v0
	scratch_store_b32 off, v0, off offset:1712 ; 4-byte Folded Spill
	ds_store_b128 v0, v[24:27]
	ds_store_b128 v0, v[32:35] offset:16
	ds_store_b128 v0, v[28:31] offset:32
	v_and_b32_e32 v0, 0xff, v127
	global_wb scope:SCOPE_SE
	s_wait_storecnt_dscnt 0x0
	s_barrier_signal -1
	s_barrier_wait -1
	global_inv scope:SCOPE_SE
	v_mul_lo_u16 v1, 0xab, v0
	s_delay_alu instid0(VALU_DEP_1) | instskip(NEXT) | instid1(VALU_DEP_1)
	v_lshrrev_b16 v52, 9, v1
	v_mul_lo_u16 v1, v52, 3
	v_and_b32_e32 v52, 0xffff, v52
	s_delay_alu instid0(VALU_DEP_2) | instskip(NEXT) | instid1(VALU_DEP_2)
	v_sub_nc_u16 v1, v127, v1
	v_mul_u32_u24_e32 v52, 30, v52
	s_delay_alu instid0(VALU_DEP_2) | instskip(NEXT) | instid1(VALU_DEP_1)
	v_and_b32_e32 v53, 0xff, v1
	v_mad_co_u64_u32 v[4:5], null, 0x90, v53, s[10:11]
	s_clause 0x1
	global_load_b128 v[9:12], v[4:5], off
	global_load_b128 v[13:16], v[4:5], off offset:16
	s_wait_loadcnt 0x1
	scratch_store_b128 off, v[9:12], off offset:1696 ; 16-byte Folded Spill
	s_wait_loadcnt 0x0
	scratch_store_b128 off, v[13:16], off offset:1520 ; 16-byte Folded Spill
	ds_load_b128 v[18:21], v148 offset:4320
	ds_load_b128 v[24:27], v148 offset:5760
	s_wait_dscnt 0x1
	v_mul_f64_e32 v[1:2], v[20:21], v[11:12]
	s_delay_alu instid0(VALU_DEP_1) | instskip(SKIP_1) | instid1(VALU_DEP_1)
	v_fma_f64 v[7:8], v[18:19], v[9:10], -v[1:2]
	v_mul_f64_e32 v[1:2], v[18:19], v[11:12]
	v_fma_f64 v[9:10], v[20:21], v[9:10], v[1:2]
	ds_load_b128 v[18:21], v148 offset:8640
	ds_load_b128 v[28:31], v148 offset:7200
	s_clause 0x1
	global_load_b128 v[40:43], v[4:5], off offset:32
	global_load_b128 v[36:39], v[4:5], off offset:48
	s_wait_dscnt 0x1
	v_mul_f64_e32 v[1:2], v[20:21], v[15:16]
	s_delay_alu instid0(VALU_DEP_1) | instskip(SKIP_1) | instid1(VALU_DEP_1)
	v_fma_f64 v[11:12], v[18:19], v[13:14], -v[1:2]
	v_mul_f64_e32 v[1:2], v[18:19], v[15:16]
	v_fma_f64 v[13:14], v[20:21], v[13:14], v[1:2]
	s_wait_loadcnt 0x1
	scratch_store_b128 off, v[40:43], off offset:1552 ; 16-byte Folded Spill
	s_wait_loadcnt 0x0
	scratch_store_b128 off, v[36:39], off offset:1456 ; 16-byte Folded Spill
	ds_load_b128 v[18:21], v148 offset:12960
	ds_load_b128 v[32:35], v148 offset:14400
	s_wait_dscnt 0x1
	v_mul_f64_e32 v[1:2], v[20:21], v[42:43]
	s_delay_alu instid0(VALU_DEP_1) | instskip(SKIP_1) | instid1(VALU_DEP_1)
	v_fma_f64 v[16:17], v[18:19], v[40:41], -v[1:2]
	v_mul_f64_e32 v[1:2], v[18:19], v[42:43]
	v_fma_f64 v[22:23], v[20:21], v[40:41], v[1:2]
	ds_load_b128 v[18:21], v148 offset:17280
	ds_load_b128 v[44:47], v148 offset:15840
	s_clause 0x1
	global_load_b128 v[56:59], v[4:5], off offset:64
	global_load_b128 v[40:43], v[4:5], off offset:80
	s_wait_dscnt 0x1
	v_mul_f64_e32 v[1:2], v[20:21], v[38:39]
	s_delay_alu instid0(VALU_DEP_1) | instskip(SKIP_1) | instid1(VALU_DEP_1)
	v_fma_f64 v[48:49], v[18:19], v[36:37], -v[1:2]
	v_mul_f64_e32 v[1:2], v[18:19], v[38:39]
	v_fma_f64 v[50:51], v[20:21], v[36:37], v[1:2]
	s_wait_loadcnt 0x1
	scratch_store_b128 off, v[56:59], off offset:1504 ; 16-byte Folded Spill
	s_wait_loadcnt 0x0
	scratch_store_b128 off, v[40:43], off offset:1296 ; 16-byte Folded Spill
	ds_load_b128 v[18:21], v148 offset:21600
	ds_load_b128 v[36:39], v148 offset:23040
	s_wait_dscnt 0x1
	v_mul_f64_e32 v[1:2], v[20:21], v[58:59]
	s_delay_alu instid0(VALU_DEP_1) | instskip(SKIP_1) | instid1(VALU_DEP_1)
	v_fma_f64 v[54:55], v[18:19], v[56:57], -v[1:2]
	v_mul_f64_e32 v[1:2], v[18:19], v[58:59]
	v_fma_f64 v[56:57], v[20:21], v[56:57], v[1:2]
	ds_load_b128 v[18:21], v148 offset:25920
	ds_load_b128 v[96:99], v148 offset:24480
	s_clause 0x1
	global_load_b128 v[64:67], v[4:5], off offset:96
	global_load_b128 v[70:73], v[4:5], off offset:112
	s_wait_dscnt 0x1
	v_mul_f64_e32 v[1:2], v[20:21], v[42:43]
	s_delay_alu instid0(VALU_DEP_1) | instskip(SKIP_1) | instid1(VALU_DEP_2)
	v_fma_f64 v[58:59], v[18:19], v[40:41], -v[1:2]
	v_mul_f64_e32 v[1:2], v[18:19], v[42:43]
	v_add_f64_e64 v[201:202], v[48:49], -v[58:59]
	s_delay_alu instid0(VALU_DEP_2) | instskip(NEXT) | instid1(VALU_DEP_1)
	v_fma_f64 v[60:61], v[20:21], v[40:41], v[1:2]
	v_add_f64_e64 v[193:194], v[50:51], -v[60:61]
	s_wait_loadcnt 0x1
	scratch_store_b128 off, v[64:67], off offset:1344 ; 16-byte Folded Spill
	s_wait_loadcnt 0x0
	scratch_store_b128 off, v[70:73], off offset:1280 ; 16-byte Folded Spill
	ds_load_b128 v[18:21], v148 offset:30240
	ds_load_b128 v[40:43], v148 offset:31680
	s_wait_dscnt 0x1
	v_mul_f64_e32 v[1:2], v[20:21], v[66:67]
	s_delay_alu instid0(VALU_DEP_1) | instskip(SKIP_1) | instid1(VALU_DEP_2)
	v_fma_f64 v[62:63], v[18:19], v[64:65], -v[1:2]
	v_mul_f64_e32 v[1:2], v[18:19], v[66:67]
	v_add_f64_e64 v[185:186], v[54:55], -v[62:63]
	s_delay_alu instid0(VALU_DEP_2)
	v_fma_f64 v[64:65], v[20:21], v[64:65], v[1:2]
	ds_load_b128 v[18:21], v148 offset:34560
	ds_load_b128 v[128:131], v148 offset:33120
	global_load_b128 v[78:81], v[4:5], off offset:128
	s_wait_dscnt 0x1
	v_mul_f64_e32 v[1:2], v[20:21], v[72:73]
	v_add_f64_e64 v[189:190], v[56:57], -v[64:65]
	s_delay_alu instid0(VALU_DEP_2) | instskip(SKIP_1) | instid1(VALU_DEP_2)
	v_fma_f64 v[66:67], v[18:19], v[70:71], -v[1:2]
	v_mul_f64_e32 v[1:2], v[18:19], v[72:73]
	v_add_f64_e64 v[199:200], v[11:12], -v[66:67]
	s_delay_alu instid0(VALU_DEP_2) | instskip(SKIP_1) | instid1(VALU_DEP_1)
	v_fma_f64 v[68:69], v[20:21], v[70:71], v[1:2]
	v_and_b32_e32 v1, 0xff, v6
	v_mul_lo_u16 v2, 0xab, v1
	s_delay_alu instid0(VALU_DEP_1) | instskip(NEXT) | instid1(VALU_DEP_1)
	v_lshrrev_b16 v3, 9, v2
	v_mul_lo_u16 v2, v3, 3
	v_and_b32_e32 v3, 0xffff, v3
	s_delay_alu instid0(VALU_DEP_2) | instskip(NEXT) | instid1(VALU_DEP_2)
	v_sub_nc_u16 v2, v6, v2
	v_mul_u32_u24_e32 v3, 30, v3
	s_delay_alu instid0(VALU_DEP_2) | instskip(SKIP_1) | instid1(VALU_DEP_2)
	v_and_b32_e32 v6, 0xff, v2
	v_and_b32_e32 v2, 0xffff, v102
	v_mad_co_u64_u32 v[4:5], null, 0x90, v6, s[10:11]
	s_delay_alu instid0(VALU_DEP_2) | instskip(NEXT) | instid1(VALU_DEP_1)
	v_mul_u32_u24_e32 v15, 0xaaab, v2
	v_lshrrev_b32_e32 v15, 17, v15
	global_load_b128 v[74:77], v[4:5], off
	v_add_f64_e64 v[191:192], v[13:14], -v[68:69]
	s_wait_loadcnt 0x1
	scratch_store_b128 off, v[78:81], off offset:1312 ; 16-byte Folded Spill
	ds_load_b128 v[18:21], v148 offset:38880
	ds_load_b128 v[112:115], v148 offset:40320
	s_clause 0x1
	global_load_b128 v[86:89], v[4:5], off offset:16
	global_load_b128 v[82:85], v[4:5], off offset:32
	s_wait_dscnt 0x1
	v_mul_f64_e32 v[70:71], v[20:21], v[80:81]
	s_delay_alu instid0(VALU_DEP_1) | instskip(SKIP_1) | instid1(VALU_DEP_2)
	v_fma_f64 v[70:71], v[18:19], v[78:79], -v[70:71]
	v_mul_f64_e32 v[18:19], v[18:19], v[80:81]
	v_add_f64_e64 v[183:184], v[16:17], -v[70:71]
	s_delay_alu instid0(VALU_DEP_2)
	v_fma_f64 v[72:73], v[20:21], v[78:79], v[18:19]
	s_wait_loadcnt 0x2
	v_mov_b32_e32 v79, v77
	v_dual_mov_b32 v78, v76 :: v_dual_mov_b32 v77, v75
	v_mov_b32_e32 v76, v74
	v_add_lshl_u32 v52, v52, v53, 4
	v_add_f64_e64 v[187:188], v[22:23], -v[72:73]
	s_delay_alu instid0(VALU_DEP_4) | instskip(SKIP_3) | instid1(VALU_DEP_1)
	v_mul_f64_e32 v[18:19], v[26:27], v[78:79]
	scratch_store_b128 off, v[76:79], off offset:1328 ; 16-byte Folded Spill
	v_fma_f64 v[74:75], v[24:25], v[76:77], -v[18:19]
	v_mul_f64_e32 v[18:19], v[24:25], v[78:79]
	v_fma_f64 v[76:77], v[26:27], v[76:77], v[18:19]
	s_wait_loadcnt 0x1
	scratch_store_b128 off, v[86:89], off offset:1360 ; 16-byte Folded Spill
	ds_load_b128 v[18:21], v148 offset:10080
	ds_load_b128 v[24:27], v148 offset:11520
	s_wait_dscnt 0x1
	v_mul_f64_e32 v[78:79], v[20:21], v[88:89]
	s_delay_alu instid0(VALU_DEP_1)
	v_fma_f64 v[78:79], v[18:19], v[86:87], -v[78:79]
	v_mul_f64_e32 v[18:19], v[18:19], v[88:89]
	global_load_b128 v[88:91], v[4:5], off offset:64
	v_fma_f64 v[80:81], v[20:21], v[86:87], v[18:19]
	s_wait_loadcnt 0x1
	v_mov_b32_e32 v87, v85
	v_dual_mov_b32 v86, v84 :: v_dual_mov_b32 v85, v83
	v_mov_b32_e32 v84, v82
	s_delay_alu instid0(VALU_DEP_2) | instskip(SKIP_3) | instid1(VALU_DEP_1)
	v_mul_f64_e32 v[18:19], v[34:35], v[86:87]
	scratch_store_b128 off, v[84:87], off offset:1376 ; 16-byte Folded Spill
	v_fma_f64 v[82:83], v[32:33], v[84:85], -v[18:19]
	v_mul_f64_e32 v[18:19], v[32:33], v[86:87]
	v_fma_f64 v[32:33], v[34:35], v[84:85], v[18:19]
	global_load_b128 v[84:87], v[4:5], off offset:48
	v_add_f64_e32 v[146:147], v[76:77], v[32:33]
	s_wait_loadcnt 0x1
	v_mov_b32_e32 v93, v91
	v_dual_mov_b32 v92, v90 :: v_dual_mov_b32 v91, v89
	v_mov_b32_e32 v90, v88
	s_wait_loadcnt 0x0
	scratch_store_b128 off, v[84:87], off offset:1392 ; 16-byte Folded Spill
	ds_load_b128 v[18:21], v148 offset:18720
	ds_load_b128 v[132:135], v148 offset:20160
	global_load_b128 v[103:106], v[4:5], off offset:80
	scratch_store_b128 off, v[90:93], off offset:1424 ; 16-byte Folded Spill
	s_wait_dscnt 0x1
	v_mul_f64_e32 v[34:35], v[20:21], v[86:87]
	s_delay_alu instid0(VALU_DEP_1) | instskip(SKIP_1) | instid1(VALU_DEP_1)
	v_fma_f64 v[34:35], v[18:19], v[84:85], -v[34:35]
	v_mul_f64_e32 v[18:19], v[18:19], v[86:87]
	v_fma_f64 v[86:87], v[20:21], v[84:85], v[18:19]
	v_mul_f64_e32 v[18:19], v[38:39], v[92:93]
	v_mul_lo_u16 v84, v15, 3
	s_delay_alu instid0(VALU_DEP_1) | instskip(NEXT) | instid1(VALU_DEP_1)
	v_sub_nc_u16 v85, v102, v84
	v_mul_lo_u16 v84, 0x90, v85
	s_delay_alu instid0(VALU_DEP_1) | instskip(SKIP_4) | instid1(VALU_DEP_1)
	v_and_b32_e32 v84, 0xffff, v84
	v_fma_f64 v[88:89], v[36:37], v[90:91], -v[18:19]
	v_mul_f64_e32 v[18:19], v[36:37], v[92:93]
	global_load_b128 v[92:95], v[4:5], off offset:96
	v_fma_f64 v[36:37], v[38:39], v[90:91], v[18:19]
	v_add_f64_e32 v[146:147], v[146:147], v[36:37]
	s_wait_loadcnt 0x1
	scratch_store_b128 off, v[103:106], off offset:1472 ; 16-byte Folded Spill
	ds_load_b128 v[18:21], v148 offset:27360
	ds_load_b128 v[136:139], v148 offset:28800
	global_load_b128 v[107:110], v[4:5], off offset:112
	s_wait_dscnt 0x1
	v_mul_f64_e32 v[38:39], v[20:21], v[105:106]
	s_delay_alu instid0(VALU_DEP_1) | instskip(SKIP_1) | instid1(VALU_DEP_2)
	v_fma_f64 v[38:39], v[18:19], v[103:104], -v[38:39]
	v_mul_f64_e32 v[18:19], v[18:19], v[105:106]
	v_add_f64_e32 v[144:145], v[34:35], v[38:39]
	s_delay_alu instid0(VALU_DEP_2) | instskip(SKIP_4) | instid1(VALU_DEP_3)
	v_fma_f64 v[90:91], v[20:21], v[103:104], v[18:19]
	s_wait_loadcnt 0x1
	v_dual_mov_b32 v106, v95 :: v_dual_mov_b32 v105, v94
	v_dual_mov_b32 v104, v93 :: v_dual_mov_b32 v103, v92
	v_add_co_u32 v94, s16, s10, v84
	v_mul_f64_e32 v[18:19], v[42:43], v[105:106]
	s_wait_alu 0xf1ff
	v_add_co_ci_u32_e64 v95, null, s11, 0, s16
	scratch_store_b128 off, v[103:106], off offset:1488 ; 16-byte Folded Spill
	s_mov_b32 s16, 0x4755a5e
	s_mov_b32 s17, 0x3fe2cf23
	s_wait_alu 0xfffe
	s_mov_b32 s20, s16
	v_fma_f64 v[92:93], v[40:41], v[103:104], -v[18:19]
	v_mul_f64_e32 v[18:19], v[40:41], v[105:106]
	s_delay_alu instid0(VALU_DEP_1)
	v_fma_f64 v[40:41], v[42:43], v[103:104], v[18:19]
	global_load_b128 v[103:106], v[4:5], off offset:128
	v_add_f64_e32 v[146:147], v[146:147], v[40:41]
	s_wait_loadcnt 0x1
	scratch_store_b128 off, v[107:110], off offset:1408 ; 16-byte Folded Spill
	ds_load_b128 v[18:21], v148 offset:36000
	ds_load_b128 v[140:143], v148 offset:37440
	global_load_b128 v[119:122], v[94:95], off offset:96
	s_wait_dscnt 0x1
	v_mul_f64_e32 v[4:5], v[20:21], v[109:110]
	s_delay_alu instid0(VALU_DEP_1) | instskip(SKIP_1) | instid1(VALU_DEP_1)
	v_fma_f64 v[4:5], v[18:19], v[107:108], -v[4:5]
	v_mul_f64_e32 v[18:19], v[18:19], v[109:110]
	v_fma_f64 v[18:19], v[20:21], v[107:108], v[18:19]
	s_wait_loadcnt 0x1
	v_mul_f64_e32 v[20:21], v[114:115], v[105:106]
	v_mul_f64_e32 v[42:43], v[112:113], v[105:106]
	s_delay_alu instid0(VALU_DEP_2)
	v_fma_f64 v[20:21], v[112:113], v[103:104], -v[20:21]
	global_load_b128 v[109:112], v[94:95], off
	v_fma_f64 v[42:43], v[114:115], v[103:104], v[42:43]
	global_load_b128 v[113:116], v[94:95], off offset:64
	scratch_store_b128 off, v[103:106], off offset:1440 ; 16-byte Folded Spill
	global_load_b128 v[105:108], v[94:95], off offset:16
	v_add_f64_e32 v[146:147], v[146:147], v[42:43]
	s_wait_loadcnt 0x3
	scratch_store_b128 off, v[119:122], off offset:1664 ; 16-byte Folded Spill
	s_wait_loadcnt 0x2
	v_mul_f64_e32 v[103:104], v[30:31], v[111:112]
	scratch_store_b128 off, v[109:112], off offset:1568 ; 16-byte Folded Spill
	s_wait_loadcnt 0x1
	scratch_store_b128 off, v[113:116], off offset:1632 ; 16-byte Folded Spill
	s_wait_loadcnt 0x0
	scratch_store_b128 off, v[105:108], off offset:1584 ; 16-byte Folded Spill
	v_fma_f64 v[103:104], v[28:29], v[109:110], -v[103:104]
	v_mul_f64_e32 v[28:29], v[28:29], v[111:112]
	s_delay_alu instid0(VALU_DEP_1) | instskip(SKIP_4) | instid1(VALU_DEP_1)
	v_fma_f64 v[28:29], v[30:31], v[109:110], v[28:29]
	v_mul_f64_e32 v[30:31], v[26:27], v[107:108]
	global_load_b128 v[109:112], v[94:95], off offset:32
	v_fma_f64 v[30:31], v[24:25], v[105:106], -v[30:31]
	v_mul_f64_e32 v[24:25], v[24:25], v[107:108]
	v_fma_f64 v[24:25], v[26:27], v[105:106], v[24:25]
	global_load_b128 v[105:108], v[94:95], off offset:48
	s_wait_loadcnt 0x1
	v_mul_f64_e32 v[26:27], v[46:47], v[111:112]
	scratch_store_b128 off, v[109:112], off offset:1600 ; 16-byte Folded Spill
	v_fma_f64 v[26:27], v[44:45], v[109:110], -v[26:27]
	v_mul_f64_e32 v[44:45], v[44:45], v[111:112]
	s_delay_alu instid0(VALU_DEP_1) | instskip(SKIP_4) | instid1(VALU_DEP_2)
	v_fma_f64 v[44:45], v[46:47], v[109:110], v[44:45]
	s_wait_loadcnt 0x0
	v_mov_b32_e32 v110, v108
	v_dual_mov_b32 v109, v107 :: v_dual_mov_b32 v108, v106
	v_mov_b32_e32 v107, v105
	v_mul_f64_e32 v[46:47], v[134:135], v[109:110]
	v_mul_f64_e32 v[105:106], v[132:133], v[109:110]
	scratch_store_b128 off, v[107:110], off offset:1616 ; 16-byte Folded Spill
	global_load_b128 v[109:112], v[94:95], off offset:80
	v_fma_f64 v[46:47], v[132:133], v[107:108], -v[46:47]
	v_fma_f64 v[105:106], v[134:135], v[107:108], v[105:106]
	v_mul_f64_e32 v[107:108], v[98:99], v[115:116]
	s_delay_alu instid0(VALU_DEP_1)
	v_fma_f64 v[107:108], v[96:97], v[113:114], -v[107:108]
	v_mul_f64_e32 v[96:97], v[96:97], v[115:116]
	global_load_b128 v[115:118], v[94:95], off offset:112
	v_fma_f64 v[96:97], v[98:99], v[113:114], v[96:97]
	s_wait_loadcnt 0x1
	v_mov_b32_e32 v114, v112
	v_dual_mov_b32 v113, v111 :: v_dual_mov_b32 v112, v110
	v_mov_b32_e32 v111, v109
	v_mul_lo_u16 v0, 0x89, v0
	v_add_lshl_u32 v3, v3, v6, 4
	s_delay_alu instid0(VALU_DEP_4)
	v_mul_f64_e32 v[98:99], v[138:139], v[113:114]
	v_mul_f64_e32 v[109:110], v[136:137], v[113:114]
	scratch_store_b128 off, v[111:114], off offset:1648 ; 16-byte Folded Spill
	v_mul_f64_e32 v[113:114], v[128:129], v[121:122]
	v_fma_f64 v[98:99], v[136:137], v[111:112], -v[98:99]
	v_fma_f64 v[109:110], v[138:139], v[111:112], v[109:110]
	v_mul_f64_e32 v[111:112], v[130:131], v[121:122]
	s_delay_alu instid0(VALU_DEP_4) | instskip(NEXT) | instid1(VALU_DEP_2)
	v_fma_f64 v[113:114], v[130:131], v[119:120], v[113:114]
	v_fma_f64 v[111:112], v[128:129], v[119:120], -v[111:112]
	s_wait_loadcnt 0x0
	v_dual_mov_b32 v122, v118 :: v_dual_mov_b32 v121, v117
	v_dual_mov_b32 v120, v116 :: v_dual_mov_b32 v119, v115
	s_wait_dscnt 0x0
	s_delay_alu instid0(VALU_DEP_2)
	v_mul_f64_e32 v[115:116], v[142:143], v[121:122]
	v_mul_f64_e32 v[117:118], v[140:141], v[121:122]
	scratch_store_b128 off, v[119:122], off offset:1680 ; 16-byte Folded Spill
	global_load_b128 v[121:124], v[94:95], off offset:128
	v_fma_f64 v[115:116], v[140:141], v[119:120], -v[115:116]
	v_fma_f64 v[117:118], v[142:143], v[119:120], v[117:118]
	s_wait_loadcnt 0x0
	scratch_store_b128 off, v[121:124], off offset:1536 ; 16-byte Folded Spill
	ds_load_b128 v[128:131], v148 offset:41760
	ds_load_b128 v[132:135], v148
	s_wait_dscnt 0x1
	v_mul_f64_e32 v[94:95], v[130:131], v[123:124]
	v_mul_f64_e32 v[119:120], v[128:129], v[123:124]
	v_add_f64_e32 v[123:124], v[11:12], v[66:67]
	s_delay_alu instid0(VALU_DEP_3) | instskip(SKIP_1) | instid1(VALU_DEP_4)
	v_fma_f64 v[94:95], v[128:129], v[121:122], -v[94:95]
	v_add_f64_e32 v[128:129], v[50:51], v[60:61]
	v_fma_f64 v[119:120], v[130:131], v[121:122], v[119:120]
	v_add_f64_e32 v[121:122], v[48:49], v[58:59]
	s_wait_dscnt 0x0
	v_fma_f64 v[123:124], v[123:124], -0.5, v[132:133]
	v_add_f64_e32 v[130:131], v[134:135], v[13:14]
	v_fma_f64 v[149:150], v[128:129], -0.5, v[134:135]
	v_add_f64_e32 v[128:129], v[13:14], v[68:69]
	v_fma_f64 v[121:122], v[121:122], -0.5, v[132:133]
	s_delay_alu instid0(VALU_DEP_4) | instskip(NEXT) | instid1(VALU_DEP_3)
	v_add_f64_e32 v[130:131], v[130:131], v[50:51]
	v_fma_f64 v[163:164], v[128:129], -0.5, v[134:135]
	v_add_f64_e32 v[128:129], v[132:133], v[11:12]
	v_add_f64_e32 v[132:133], v[7:8], v[16:17]
	;; [unrolled: 1-line block ×4, first 2 shown]
	s_delay_alu instid0(VALU_DEP_4) | instskip(NEXT) | instid1(VALU_DEP_4)
	v_add_f64_e32 v[128:129], v[128:129], v[48:49]
	v_add_f64_e32 v[132:133], v[132:133], v[54:55]
	s_delay_alu instid0(VALU_DEP_4) | instskip(NEXT) | instid1(VALU_DEP_4)
	v_add_f64_e32 v[134:135], v[134:135], v[56:57]
	v_add_f64_e32 v[138:139], v[130:131], v[68:69]
	;; [unrolled: 3-line block ×3, first 2 shown]
	s_delay_alu instid0(VALU_DEP_4) | instskip(NEXT) | instid1(VALU_DEP_3)
	v_add_f64_e32 v[134:135], v[134:135], v[64:65]
	v_add_f64_e32 v[136:137], v[128:129], v[66:67]
	s_delay_alu instid0(VALU_DEP_3) | instskip(NEXT) | instid1(VALU_DEP_3)
	v_add_f64_e32 v[132:133], v[132:133], v[70:71]
	v_add_f64_e32 v[134:135], v[134:135], v[72:73]
	s_delay_alu instid0(VALU_DEP_2) | instskip(NEXT) | instid1(VALU_DEP_2)
	v_add_f64_e32 v[128:129], v[136:137], v[132:133]
	v_add_f64_e32 v[130:131], v[138:139], v[134:135]
	v_add_f64_e64 v[132:133], v[136:137], -v[132:133]
	v_add_f64_e64 v[134:135], v[138:139], -v[134:135]
	ds_load_b128 v[136:139], v148 offset:1440
	ds_load_b128 v[140:143], v148 offset:2880
	global_wb scope:SCOPE_SE
	s_wait_storecnt_dscnt 0x0
	s_barrier_signal -1
	s_barrier_wait -1
	global_inv scope:SCOPE_SE
	ds_store_b128 v52, v[128:131]
	ds_store_b128 v52, v[132:135] offset:240
	v_fma_f64 v[203:204], v[144:145], -0.5, v[136:137]
	v_add_f64_e32 v[144:145], v[78:79], v[4:5]
	v_add_f64_e64 v[128:129], v[11:12], -v[48:49]
	v_add_f64_e64 v[130:131], v[66:67], -v[58:59]
	;; [unrolled: 1-line block ×5, first 2 shown]
	scratch_store_b32 off, v52, off offset:1276 ; 4-byte Folded Spill
	v_fma_f64 v[195:196], v[144:145], -0.5, v[136:137]
	v_add_f64_e32 v[144:145], v[86:87], v[90:91]
	v_add_f64_e32 v[171:172], v[128:129], v[130:131]
	v_add_f64_e64 v[128:129], v[13:14], -v[50:51]
	v_add_f64_e64 v[130:131], v[68:69], -v[60:61]
	v_add_f64_e32 v[136:137], v[136:137], v[78:79]
	v_add_f64_e64 v[13:14], v[50:51], -v[13:14]
	v_add_f64_e64 v[50:51], v[60:61], -v[68:69]
	;; [unrolled: 1-line block ×3, first 2 shown]
	v_add_f64_e32 v[11:12], v[11:12], v[48:49]
	v_add_f64_e64 v[68:69], v[78:79], -v[4:5]
	v_fma_f64 v[205:206], v[144:145], -0.5, v[138:139]
	v_add_f64_e32 v[144:145], v[80:81], v[18:19]
	v_add_f64_e32 v[173:174], v[128:129], v[130:131]
	v_add_f64_e64 v[128:129], v[16:17], -v[54:55]
	v_add_f64_e64 v[130:131], v[70:71], -v[62:63]
	v_add_f64_e32 v[136:137], v[136:137], v[34:35]
	v_add_f64_e32 v[13:14], v[13:14], v[50:51]
	v_fma_f64 v[197:198], v[144:145], -0.5, v[138:139]
	v_add_f64_e32 v[144:145], v[74:75], v[82:83]
	v_add_f64_e32 v[138:139], v[138:139], v[80:81]
	;; [unrolled: 1-line block ×3, first 2 shown]
	v_add_f64_e64 v[128:129], v[22:23], -v[56:57]
	v_add_f64_e64 v[130:131], v[72:73], -v[64:65]
	v_add_f64_e32 v[136:137], v[136:137], v[38:39]
	v_add_f64_e32 v[144:145], v[144:145], v[88:89]
	;; [unrolled: 1-line block ×3, first 2 shown]
	s_delay_alu instid0(VALU_DEP_4)
	v_add_f64_e32 v[177:178], v[128:129], v[130:131]
	v_add_f64_e32 v[128:129], v[54:55], v[62:63]
	;; [unrolled: 1-line block ×3, first 2 shown]
	v_add_f64_e64 v[54:55], v[54:55], -v[16:17]
	v_add_f64_e32 v[16:17], v[16:17], v[70:71]
	v_add_f64_e64 v[70:71], v[34:35], -v[38:39]
	v_add_f64_e32 v[144:145], v[144:145], v[92:93]
	v_add_f64_e32 v[138:139], v[138:139], v[90:91]
	v_fma_f64 v[179:180], v[128:129], -0.5, v[7:8]
	v_add_f64_e32 v[128:129], v[56:57], v[64:65]
	v_add_f64_e64 v[56:57], v[56:57], -v[22:23]
	v_add_f64_e32 v[22:23], v[22:23], v[72:73]
	v_fma_f64 v[7:8], v[16:17], -0.5, v[7:8]
	v_add_f64_e32 v[16:17], v[54:55], v[58:59]
	v_add_f64_e64 v[58:59], v[36:37], -v[40:41]
	v_add_f64_e64 v[64:65], v[86:87], -v[90:91]
	v_fma_f64 v[72:73], v[68:69], s[24:25], v[205:206]
	v_add_f64_e32 v[144:145], v[144:145], v[20:21]
	v_add_f64_e32 v[153:154], v[138:139], v[18:19]
	v_fma_f64 v[130:131], v[187:188], s[22:23], v[179:180]
	v_fma_f64 v[181:182], v[128:129], -0.5, v[9:10]
	v_fma_f64 v[9:10], v[22:23], -0.5, v[9:10]
	v_add_f64_e32 v[22:23], v[56:57], v[60:61]
	v_fma_f64 v[50:51], v[189:190], s[24:25], v[7:8]
	v_fma_f64 v[56:57], v[201:202], s[22:23], v[163:164]
	;; [unrolled: 1-line block ×4, first 2 shown]
	v_add_f64_e32 v[136:137], v[151:152], v[144:145]
	v_add_f64_e64 v[144:145], v[151:152], -v[144:145]
	v_add_f64_e32 v[151:152], v[46:47], v[98:99]
	v_add_f64_e32 v[138:139], v[153:154], v[146:147]
	v_add_f64_e64 v[146:147], v[153:154], -v[146:147]
	v_add_f64_e32 v[153:154], v[28:29], v[44:45]
	v_fma_f64 v[130:131], v[189:190], s[16:17], v[130:131]
	v_fma_f64 v[128:129], v[183:184], s[24:25], v[181:182]
	;; [unrolled: 1-line block ×7, first 2 shown]
	v_fma_f64 v[235:236], v[151:152], -0.5, v[140:141]
	v_add_f64_e32 v[151:152], v[30:31], v[115:116]
	v_add_f64_e32 v[153:154], v[153:154], v[96:97]
	v_fma_f64 v[130:131], v[175:176], s[18:19], v[130:131]
	v_fma_f64 v[128:129], v[185:186], s[20:21], v[128:129]
	;; [unrolled: 1-line block ×7, first 2 shown]
	v_fma_f64 v[227:228], v[151:152], -0.5, v[140:141]
	v_add_f64_e32 v[151:152], v[105:106], v[109:110]
	v_add_f64_e32 v[153:154], v[153:154], v[113:114]
	;; [unrolled: 1-line block ×3, first 2 shown]
	v_fma_f64 v[128:129], v[177:178], s[18:19], v[128:129]
	v_fma_f64 v[48:49], v[22:23], s[18:19], v[48:49]
	;; [unrolled: 1-line block ×3, first 2 shown]
	v_add_f64_e32 v[22:23], v[36:37], v[40:41]
	v_mul_f64_e32 v[16:17], s[28:29], v[7:8]
	v_fma_f64 v[237:238], v[151:152], -0.5, v[142:143]
	v_add_f64_e32 v[151:152], v[24:25], v[117:118]
	v_add_f64_e32 v[153:154], v[153:154], v[119:120]
	v_mul_f64_e32 v[132:133], s[16:17], v[128:129]
	v_add_f64_e32 v[140:141], v[140:141], v[46:47]
	v_mul_f64_e32 v[54:55], s[22:23], v[48:49]
	v_fma_f64 v[22:23], v[22:23], -0.5, v[76:77]
	v_fma_f64 v[16:17], v[9:10], s[22:23], v[16:17]
	v_mul_f64_e32 v[9:10], s[28:29], v[9:10]
	v_fma_f64 v[229:230], v[151:152], -0.5, v[142:143]
	v_add_f64_e32 v[142:143], v[142:143], v[24:25]
	v_fma_f64 v[132:133], v[130:131], s[26:27], v[132:133]
	v_mul_f64_e32 v[130:131], s[20:21], v[130:131]
	v_fma_f64 v[54:55], v[50:51], s[18:19], v[54:55]
	v_mul_f64_e32 v[50:51], s[24:25], v[50:51]
	v_add_f64_e32 v[151:152], v[103:104], v[26:27]
	v_add_f64_e32 v[140:141], v[140:141], v[98:99]
	v_fma_f64 v[7:8], v[7:8], s[24:25], v[9:10]
	v_fma_f64 v[9:10], v[191:192], s[24:25], v[121:122]
	v_add_f64_e32 v[142:143], v[142:143], v[105:106]
	v_fma_f64 v[134:135], v[128:129], s[26:27], v[130:131]
	v_fma_f64 v[130:131], v[199:200], s[24:25], v[149:150]
	;; [unrolled: 1-line block ×4, first 2 shown]
	v_add_f64_e32 v[151:152], v[151:152], v[107:108]
	v_fma_f64 v[128:129], v[191:192], s[22:23], v[121:122]
	v_add_f64_e32 v[155:156], v[140:141], v[115:116]
	v_fma_f64 v[9:10], v[193:194], s[20:21], v[9:10]
	;; [unrolled: 2-line block ×3, first 2 shown]
	v_add_f64_e64 v[161:162], v[56:57], -v[48:49]
	v_fma_f64 v[50:51], v[191:192], s[16:17], v[50:51]
	v_add_f64_e32 v[151:152], v[151:152], v[111:112]
	v_fma_f64 v[128:129], v[193:194], s[16:17], v[128:129]
	v_fma_f64 v[9:10], v[171:172], s[18:19], v[9:10]
	v_add_f64_e32 v[157:158], v[142:143], v[117:118]
	v_fma_f64 v[50:51], v[11:12], s[18:19], v[50:51]
	v_add_f64_e32 v[151:152], v[151:152], v[94:95]
	s_delay_alu instid0(VALU_DEP_3)
	v_add_f64_e32 v[142:143], v[157:158], v[153:154]
	v_add_f64_e64 v[153:154], v[157:158], -v[153:154]
	v_fma_f64 v[157:158], v[173:174], s[18:19], v[130:131]
	v_add_f64_e64 v[159:160], v[50:51], -v[54:55]
	v_add_f64_e32 v[140:141], v[155:156], v[151:152]
	v_add_f64_e64 v[151:152], v[155:156], -v[151:152]
	v_fma_f64 v[155:156], v[171:172], s[18:19], v[128:129]
	v_add_f64_e32 v[130:131], v[157:158], v[134:135]
	v_add_f64_e64 v[134:135], v[157:158], -v[134:135]
	v_add_f64_e32 v[157:158], v[56:57], v[48:49]
	v_fma_f64 v[48:49], v[193:194], s[22:23], v[123:124]
	v_add_f64_e64 v[56:57], v[32:33], -v[42:43]
	v_add_f64_e32 v[128:129], v[155:156], v[132:133]
	v_add_f64_e64 v[132:133], v[155:156], -v[132:133]
	v_add_f64_e32 v[155:156], v[50:51], v[54:55]
	v_add_f64_e64 v[50:51], v[88:89], -v[92:93]
	v_fma_f64 v[48:49], v[191:192], s[20:21], v[48:49]
	s_delay_alu instid0(VALU_DEP_1) | instskip(SKIP_1) | instid1(VALU_DEP_2)
	v_fma_f64 v[11:12], v[11:12], s[18:19], v[48:49]
	v_fma_f64 v[48:49], v[201:202], s[24:25], v[163:164]
	v_add_f64_e32 v[163:164], v[11:12], v[16:17]
	s_delay_alu instid0(VALU_DEP_2) | instskip(SKIP_2) | instid1(VALU_DEP_3)
	v_fma_f64 v[48:49], v[199:200], s[16:17], v[48:49]
	v_add_f64_e64 v[167:168], v[11:12], -v[16:17]
	v_fma_f64 v[11:12], v[199:200], s[22:23], v[149:150]
	v_fma_f64 v[13:14], v[13:14], s[18:19], v[48:49]
	v_add_f64_e64 v[48:49], v[82:83], -v[20:21]
	s_delay_alu instid0(VALU_DEP_3) | instskip(NEXT) | instid1(VALU_DEP_3)
	v_fma_f64 v[11:12], v[201:202], s[16:17], v[11:12]
	v_add_f64_e32 v[165:166], v[13:14], v[7:8]
	v_add_f64_e64 v[169:170], v[13:14], -v[7:8]
	v_fma_f64 v[7:8], v[187:188], s[24:25], v[179:180]
	v_fma_f64 v[13:14], v[183:184], s[22:23], v[181:182]
	;; [unrolled: 1-line block ×4, first 2 shown]
	s_delay_alu instid0(VALU_DEP_4) | instskip(NEXT) | instid1(VALU_DEP_4)
	v_fma_f64 v[7:8], v[189:190], s[20:21], v[7:8]
	v_fma_f64 v[13:14], v[185:186], s[16:17], v[13:14]
	s_delay_alu instid0(VALU_DEP_3) | instskip(NEXT) | instid1(VALU_DEP_3)
	v_fma_f64 v[54:55], v[50:51], s[20:21], v[54:55]
	v_fma_f64 v[7:8], v[175:176], s[18:19], v[7:8]
	s_delay_alu instid0(VALU_DEP_3) | instskip(NEXT) | instid1(VALU_DEP_2)
	v_fma_f64 v[13:14], v[177:178], s[18:19], v[13:14]
	v_mul_f64_e32 v[16:17], s[30:31], v[7:8]
	s_delay_alu instid0(VALU_DEP_1) | instskip(SKIP_1) | instid1(VALU_DEP_2)
	v_fma_f64 v[16:17], v[13:14], s[16:17], v[16:17]
	v_mul_f64_e32 v[13:14], s[30:31], v[13:14]
	v_add_f64_e32 v[171:172], v[9:10], v[16:17]
	s_delay_alu instid0(VALU_DEP_2)
	v_fma_f64 v[7:8], v[7:8], s[20:21], v[13:14]
	v_add_f64_e64 v[175:176], v[9:10], -v[16:17]
	v_add_f64_e64 v[9:10], v[4:5], -v[38:39]
	;; [unrolled: 1-line block ×7, first 2 shown]
	v_add_f64_e32 v[173:174], v[11:12], v[7:8]
	v_add_f64_e64 v[177:178], v[11:12], -v[7:8]
	v_add_f64_e64 v[7:8], v[78:79], -v[34:35]
	;; [unrolled: 1-line block ×4, first 2 shown]
	ds_store_b128 v52, v[128:131] offset:48
	ds_store_b128 v52, v[155:158] offset:96
	;; [unrolled: 1-line block ×8, first 2 shown]
	scratch_store_b32 off, v3, off offset:1272 ; 4-byte Folded Spill
	v_add_f64_e32 v[7:8], v[7:8], v[9:10]
	v_add_f64_e64 v[9:10], v[80:81], -v[86:87]
	v_add_f64_e32 v[4:5], v[34:35], v[4:5]
	s_delay_alu instid0(VALU_DEP_2) | instskip(SKIP_1) | instid1(VALU_DEP_2)
	v_add_f64_e32 v[9:10], v[9:10], v[11:12]
	v_add_f64_e64 v[11:12], v[82:83], -v[88:89]
	v_fma_f64 v[72:73], v[9:10], s[18:19], v[72:73]
	s_delay_alu instid0(VALU_DEP_2) | instskip(SKIP_3) | instid1(VALU_DEP_3)
	v_add_f64_e32 v[11:12], v[11:12], v[13:14]
	v_add_f64_e64 v[13:14], v[32:33], -v[36:37]
	v_add_f64_e64 v[36:37], v[36:37], -v[32:33]
	v_add_f64_e32 v[32:33], v[32:33], v[42:43]
	v_add_f64_e32 v[13:14], v[13:14], v[16:17]
	v_add_f64_e32 v[16:17], v[88:89], v[92:93]
	s_delay_alu instid0(VALU_DEP_3) | instskip(SKIP_1) | instid1(VALU_DEP_4)
	v_fma_f64 v[32:33], v[32:33], -0.5, v[76:77]
	v_add_f64_e32 v[36:37], v[36:37], v[40:41]
	v_fma_f64 v[54:55], v[13:14], s[18:19], v[54:55]
	s_delay_alu instid0(VALU_DEP_4) | instskip(NEXT) | instid1(VALU_DEP_2)
	v_fma_f64 v[16:17], v[16:17], -0.5, v[74:75]
	v_mul_f64_e32 v[62:63], s[16:17], v[54:55]
	s_delay_alu instid0(VALU_DEP_2) | instskip(NEXT) | instid1(VALU_DEP_1)
	v_fma_f64 v[60:61], v[56:57], s[22:23], v[16:17]
	v_fma_f64 v[60:61], v[58:59], s[16:17], v[60:61]
	s_delay_alu instid0(VALU_DEP_1) | instskip(NEXT) | instid1(VALU_DEP_1)
	v_fma_f64 v[60:61], v[11:12], s[18:19], v[60:61]
	v_fma_f64 v[62:63], v[60:61], s[26:27], v[62:63]
	v_mul_f64_e32 v[60:61], s[20:21], v[60:61]
	s_delay_alu instid0(VALU_DEP_1) | instskip(SKIP_2) | instid1(VALU_DEP_3)
	v_fma_f64 v[54:55], v[54:55], s[26:27], v[60:61]
	v_add_f64_e64 v[60:61], v[80:81], -v[18:19]
	v_add_f64_e64 v[18:19], v[90:91], -v[18:19]
	v_add_f64_e32 v[181:182], v[72:73], v[54:55]
	s_delay_alu instid0(VALU_DEP_3) | instskip(NEXT) | instid1(VALU_DEP_3)
	v_fma_f64 v[66:67], v[60:61], s[22:23], v[203:204]
	v_add_f64_e32 v[18:19], v[38:39], v[18:19]
	v_fma_f64 v[38:39], v[50:51], s[22:23], v[32:33]
	v_add_f64_e64 v[185:186], v[72:73], -v[54:55]
	v_add_f64_e64 v[54:55], v[88:89], -v[82:83]
	v_fma_f64 v[32:33], v[50:51], s[24:25], v[32:33]
	v_fma_f64 v[66:67], v[64:65], s[16:17], v[66:67]
	;; [unrolled: 1-line block ×3, first 2 shown]
	s_delay_alu instid0(VALU_DEP_3) | instskip(NEXT) | instid1(VALU_DEP_3)
	v_fma_f64 v[32:33], v[48:49], s[16:17], v[32:33]
	v_fma_f64 v[66:67], v[7:8], s[18:19], v[66:67]
	s_delay_alu instid0(VALU_DEP_3) | instskip(NEXT) | instid1(VALU_DEP_3)
	v_fma_f64 v[38:39], v[36:37], s[18:19], v[38:39]
	v_fma_f64 v[32:33], v[36:37], s[18:19], v[32:33]
	s_delay_alu instid0(VALU_DEP_3) | instskip(SKIP_4) | instid1(VALU_DEP_3)
	v_add_f64_e32 v[179:180], v[66:67], v[62:63]
	v_add_f64_e64 v[183:184], v[66:67], -v[62:63]
	v_add_f64_e32 v[62:63], v[82:83], v[20:21]
	v_add_f64_e64 v[20:21], v[92:93], -v[20:21]
	v_mul_f64_e32 v[42:43], s[22:23], v[38:39]
	v_fma_f64 v[34:35], v[62:63], -0.5, v[74:75]
	s_delay_alu instid0(VALU_DEP_3) | instskip(SKIP_1) | instid1(VALU_DEP_3)
	v_add_f64_e32 v[20:21], v[54:55], v[20:21]
	v_fma_f64 v[54:55], v[70:71], s[22:23], v[197:198]
	v_fma_f64 v[40:41], v[58:59], s[24:25], v[34:35]
	;; [unrolled: 1-line block ×3, first 2 shown]
	s_delay_alu instid0(VALU_DEP_3) | instskip(NEXT) | instid1(VALU_DEP_3)
	v_fma_f64 v[54:55], v[68:69], s[20:21], v[54:55]
	v_fma_f64 v[40:41], v[56:57], s[16:17], v[40:41]
	s_delay_alu instid0(VALU_DEP_3) | instskip(NEXT) | instid1(VALU_DEP_3)
	v_fma_f64 v[34:35], v[56:57], s[20:21], v[34:35]
	v_fma_f64 v[54:55], v[18:19], s[18:19], v[54:55]
	;; [unrolled: 3-line block ×3, first 2 shown]
	s_delay_alu instid0(VALU_DEP_2) | instskip(SKIP_1) | instid1(VALU_DEP_3)
	v_fma_f64 v[42:43], v[40:41], s[18:19], v[42:43]
	v_mul_f64_e32 v[40:41], s[24:25], v[40:41]
	v_mul_f64_e32 v[34:35], s[28:29], v[20:21]
	s_delay_alu instid0(VALU_DEP_2) | instskip(SKIP_1) | instid1(VALU_DEP_3)
	v_fma_f64 v[38:39], v[38:39], s[18:19], v[40:41]
	v_fma_f64 v[40:41], v[64:65], s[24:25], v[195:196]
	;; [unrolled: 1-line block ×3, first 2 shown]
	v_mul_f64_e32 v[32:33], s[28:29], v[32:33]
	s_delay_alu instid0(VALU_DEP_4)
	v_add_f64_e32 v[189:190], v[54:55], v[38:39]
	v_add_f64_e64 v[193:194], v[54:55], -v[38:39]
	v_fma_f64 v[38:39], v[64:65], s[22:23], v[195:196]
	v_fma_f64 v[40:41], v[60:61], s[16:17], v[40:41]
	;; [unrolled: 1-line block ×3, first 2 shown]
	v_add_f64_e64 v[32:33], v[44:45], -v[119:120]
	s_delay_alu instid0(VALU_DEP_4) | instskip(NEXT) | instid1(VALU_DEP_4)
	v_fma_f64 v[38:39], v[60:61], s[20:21], v[38:39]
	v_fma_f64 v[40:41], v[4:5], s[18:19], v[40:41]
	s_delay_alu instid0(VALU_DEP_2) | instskip(SKIP_1) | instid1(VALU_DEP_3)
	v_fma_f64 v[4:5], v[4:5], s[18:19], v[38:39]
	v_fma_f64 v[38:39], v[70:71], s[24:25], v[197:198]
	v_add_f64_e32 v[187:188], v[40:41], v[42:43]
	v_add_f64_e64 v[191:192], v[40:41], -v[42:43]
	v_add_f64_e64 v[40:41], v[105:106], -v[109:110]
	v_add_f64_e32 v[195:196], v[4:5], v[34:35]
	v_fma_f64 v[38:39], v[68:69], s[16:17], v[38:39]
	v_add_f64_e64 v[199:200], v[4:5], -v[34:35]
	v_fma_f64 v[4:5], v[56:57], s[24:25], v[16:17]
	v_fma_f64 v[16:17], v[60:61], s[24:25], v[203:204]
	v_add_f64_e64 v[34:35], v[96:97], -v[113:114]
	v_add_f64_e64 v[56:57], v[113:114], -v[119:120]
	v_fma_f64 v[18:19], v[18:19], s[18:19], v[38:39]
	v_fma_f64 v[4:5], v[58:59], s[20:21], v[4:5]
	;; [unrolled: 1-line block ×3, first 2 shown]
	s_delay_alu instid0(VALU_DEP_3)
	v_add_f64_e32 v[197:198], v[18:19], v[20:21]
	v_add_f64_e64 v[201:202], v[18:19], -v[20:21]
	v_fma_f64 v[20:21], v[48:49], s[22:23], v[22:23]
	v_fma_f64 v[4:5], v[11:12], s[18:19], v[4:5]
	;; [unrolled: 1-line block ×4, first 2 shown]
	v_add_f64_e32 v[16:17], v[96:97], v[113:114]
	v_add_f64_e64 v[48:49], v[30:31], -v[115:116]
	v_fma_f64 v[20:21], v[50:51], s[16:17], v[20:21]
	v_add_f64_e64 v[50:51], v[46:47], -v[98:99]
	v_fma_f64 v[18:19], v[70:71], s[16:17], v[18:19]
	v_fma_f64 v[16:17], v[16:17], -0.5, v[28:29]
	v_fma_f64 v[54:55], v[48:49], s[24:25], v[237:238]
	v_fma_f64 v[11:12], v[13:14], s[18:19], v[20:21]
	v_mul_f64_e32 v[13:14], s[30:31], v[4:5]
	v_fma_f64 v[9:10], v[9:10], s[18:19], v[18:19]
	v_add_f64_e64 v[18:19], v[26:27], -v[94:95]
	v_add_f64_e64 v[20:21], v[107:108], -v[111:112]
	v_fma_f64 v[54:55], v[50:51], s[20:21], v[54:55]
	v_fma_f64 v[13:14], v[11:12], s[16:17], v[13:14]
	v_mul_f64_e32 v[11:12], s[30:31], v[11:12]
	v_fma_f64 v[22:23], v[18:19], s[24:25], v[16:17]
	v_fma_f64 v[16:17], v[18:19], s[22:23], v[16:17]
	s_delay_alu instid0(VALU_DEP_4) | instskip(NEXT) | instid1(VALU_DEP_4)
	v_add_f64_e32 v[203:204], v[7:8], v[13:14]
	v_fma_f64 v[4:5], v[4:5], s[20:21], v[11:12]
	v_add_f64_e64 v[207:208], v[7:8], -v[13:14]
	v_add_f64_e64 v[7:8], v[115:116], -v[98:99]
	v_add_f64_e64 v[11:12], v[94:95], -v[111:112]
	v_add_f64_e64 v[13:14], v[119:120], -v[113:114]
	v_fma_f64 v[22:23], v[20:21], s[20:21], v[22:23]
	v_fma_f64 v[16:17], v[20:21], s[16:17], v[16:17]
	v_add_f64_e32 v[205:206], v[9:10], v[4:5]
	v_add_f64_e64 v[209:210], v[9:10], -v[4:5]
	v_add_f64_e64 v[4:5], v[30:31], -v[46:47]
	;; [unrolled: 1-line block ×3, first 2 shown]
	ds_store_b128 v3, v[136:139]
	ds_store_b128 v3, v[179:182] offset:48
	ds_store_b128 v3, v[187:190] offset:96
	;; [unrolled: 1-line block ×9, first 2 shown]
	v_mad_u16 v3, v15, 30, v85
	v_mov_b32_e32 v180, v101
	v_add_f64_e32 v[4:5], v[4:5], v[7:8]
	v_add_f64_e64 v[7:8], v[24:25], -v[105:106]
	s_delay_alu instid0(VALU_DEP_4) | instskip(NEXT) | instid1(VALU_DEP_1)
	v_and_b32_e32 v3, 0xffff, v3
	v_lshlrev_b32_e32 v181, 4, v3
	s_delay_alu instid0(VALU_DEP_3) | instskip(SKIP_1) | instid1(VALU_DEP_2)
	v_add_f64_e32 v[7:8], v[7:8], v[9:10]
	v_add_f64_e64 v[9:10], v[26:27], -v[107:108]
	v_fma_f64 v[54:55], v[7:8], s[18:19], v[54:55]
	s_delay_alu instid0(VALU_DEP_2) | instskip(SKIP_1) | instid1(VALU_DEP_1)
	v_add_f64_e32 v[9:10], v[9:10], v[11:12]
	v_add_f64_e64 v[11:12], v[44:45], -v[96:97]
	v_add_f64_e32 v[11:12], v[11:12], v[13:14]
	v_add_f64_e32 v[13:14], v[107:108], v[111:112]
	s_delay_alu instid0(VALU_DEP_2) | instskip(NEXT) | instid1(VALU_DEP_2)
	v_fma_f64 v[22:23], v[11:12], s[18:19], v[22:23]
	v_fma_f64 v[13:14], v[13:14], -0.5, v[103:104]
	v_fma_f64 v[11:12], v[11:12], s[18:19], v[16:17]
	s_delay_alu instid0(VALU_DEP_3) | instskip(NEXT) | instid1(VALU_DEP_3)
	v_mul_f64_e32 v[38:39], s[16:17], v[22:23]
	v_fma_f64 v[36:37], v[32:33], s[22:23], v[13:14]
	v_fma_f64 v[13:14], v[32:33], s[24:25], v[13:14]
	s_delay_alu instid0(VALU_DEP_2) | instskip(NEXT) | instid1(VALU_DEP_2)
	v_fma_f64 v[36:37], v[34:35], s[16:17], v[36:37]
	v_fma_f64 v[13:14], v[34:35], s[20:21], v[13:14]
	s_delay_alu instid0(VALU_DEP_2) | instskip(NEXT) | instid1(VALU_DEP_2)
	v_fma_f64 v[36:37], v[9:10], s[18:19], v[36:37]
	v_fma_f64 v[9:10], v[9:10], s[18:19], v[13:14]
	s_delay_alu instid0(VALU_DEP_2) | instskip(SKIP_1) | instid1(VALU_DEP_3)
	v_fma_f64 v[38:39], v[36:37], s[26:27], v[38:39]
	v_mul_f64_e32 v[36:37], s[20:21], v[36:37]
	v_mul_f64_e32 v[13:14], s[30:31], v[9:10]
	s_delay_alu instid0(VALU_DEP_2) | instskip(SKIP_2) | instid1(VALU_DEP_4)
	v_fma_f64 v[22:23], v[22:23], s[26:27], v[36:37]
	v_add_f64_e64 v[36:37], v[24:25], -v[117:118]
	v_add_f64_e64 v[24:25], v[105:106], -v[24:25]
	v_fma_f64 v[13:14], v[11:12], s[16:17], v[13:14]
	v_mul_f64_e32 v[11:12], s[30:31], v[11:12]
	v_add_f64_e32 v[213:214], v[54:55], v[22:23]
	v_fma_f64 v[42:43], v[36:37], s[22:23], v[235:236]
	v_add_f64_e64 v[217:218], v[54:55], -v[22:23]
	v_add_f64_e64 v[54:55], v[96:97], -v[44:45]
	v_add_f64_e32 v[44:45], v[44:45], v[119:120]
	v_add_f64_e64 v[22:23], v[46:47], -v[30:31]
	v_add_f64_e64 v[30:31], v[98:99], -v[115:116]
	;; [unrolled: 1-line block ×3, first 2 shown]
	v_fma_f64 v[9:10], v[9:10], s[20:21], v[11:12]
	v_fma_f64 v[42:43], v[40:41], s[16:17], v[42:43]
	v_fma_f64 v[28:29], v[44:45], -0.5, v[28:29]
	v_add_f64_e32 v[22:23], v[22:23], v[30:31]
	s_delay_alu instid0(VALU_DEP_3) | instskip(NEXT) | instid1(VALU_DEP_1)
	v_fma_f64 v[42:43], v[4:5], s[18:19], v[42:43]
	v_add_f64_e32 v[211:212], v[42:43], v[38:39]
	v_add_f64_e64 v[215:216], v[42:43], -v[38:39]
	v_add_f64_e64 v[42:43], v[107:108], -v[26:27]
	v_add_f64_e32 v[26:27], v[26:27], v[94:95]
	v_add_f64_e64 v[38:39], v[109:110], -v[117:118]
	s_delay_alu instid0(VALU_DEP_3) | instskip(NEXT) | instid1(VALU_DEP_3)
	v_add_f64_e32 v[30:31], v[42:43], v[46:47]
	v_fma_f64 v[26:27], v[26:27], -0.5, v[103:104]
	v_fma_f64 v[42:43], v[20:21], s[22:23], v[28:29]
	s_delay_alu instid0(VALU_DEP_4)
	v_add_f64_e32 v[24:25], v[24:25], v[38:39]
	v_add_f64_e32 v[38:39], v[54:55], v[56:57]
	v_fma_f64 v[54:55], v[50:51], s[22:23], v[229:230]
	v_fma_f64 v[28:29], v[20:21], s[24:25], v[28:29]
	;; [unrolled: 1-line block ×13, first 2 shown]
	v_mul_f64_e32 v[46:47], s[22:23], v[42:43]
	v_fma_f64 v[26:27], v[30:31], s[18:19], v[26:27]
	s_delay_alu instid0(VALU_DEP_2) | instskip(SKIP_1) | instid1(VALU_DEP_3)
	v_fma_f64 v[46:47], v[44:45], s[18:19], v[46:47]
	v_mul_f64_e32 v[44:45], s[24:25], v[44:45]
	v_mul_f64_e32 v[30:31], s[28:29], v[26:27]
	s_delay_alu instid0(VALU_DEP_2) | instskip(SKIP_1) | instid1(VALU_DEP_3)
	v_fma_f64 v[42:43], v[42:43], s[18:19], v[44:45]
	v_fma_f64 v[44:45], v[40:41], s[24:25], v[227:228]
	;; [unrolled: 1-line block ×3, first 2 shown]
	v_mul_f64_e32 v[28:29], s[28:29], v[28:29]
	s_delay_alu instid0(VALU_DEP_4) | instskip(SKIP_4) | instid1(VALU_DEP_3)
	v_add_f64_e32 v[221:222], v[54:55], v[42:43]
	v_add_f64_e64 v[225:226], v[54:55], -v[42:43]
	v_fma_f64 v[42:43], v[40:41], s[22:23], v[227:228]
	v_fma_f64 v[44:45], v[36:37], s[16:17], v[44:45]
	;; [unrolled: 1-line block ×4, first 2 shown]
	s_delay_alu instid0(VALU_DEP_3) | instskip(NEXT) | instid1(VALU_DEP_2)
	v_fma_f64 v[44:45], v[22:23], s[18:19], v[44:45]
	v_fma_f64 v[22:23], v[22:23], s[18:19], v[42:43]
	;; [unrolled: 1-line block ×3, first 2 shown]
	s_delay_alu instid0(VALU_DEP_3) | instskip(SKIP_2) | instid1(VALU_DEP_1)
	v_add_f64_e32 v[219:220], v[44:45], v[46:47]
	v_add_f64_e64 v[223:224], v[44:45], -v[46:47]
	v_lshrrev_b16 v45, 12, v0
	v_mul_lo_u16 v0, v45, 30
	s_delay_alu instid0(VALU_DEP_1) | instskip(NEXT) | instid1(VALU_DEP_1)
	v_sub_nc_u16 v0, v127, v0
	v_and_b32_e32 v46, 0xff, v0
	v_mul_lo_u16 v0, 0x89, v1
	s_delay_alu instid0(VALU_DEP_1) | instskip(NEXT) | instid1(VALU_DEP_1)
	v_lshrrev_b16 v53, 12, v0
	v_mul_lo_u16 v0, v53, 30
	s_delay_alu instid0(VALU_DEP_1)
	v_sub_nc_u16 v0, v101, v0
	v_add_f64_e32 v[227:228], v[22:23], v[30:31]
	v_fma_f64 v[42:43], v[48:49], s[16:17], v[42:43]
	v_add_f64_e64 v[231:232], v[22:23], -v[30:31]
	v_fma_f64 v[22:23], v[36:37], s[24:25], v[235:236]
	v_and_b32_e32 v201, 0xff, v0
	s_delay_alu instid0(VALU_DEP_1) | instskip(SKIP_1) | instid1(VALU_DEP_4)
	v_mad_co_u64_u32 v[0:1], null, 0x90, v201, s[10:11]
	v_fma_f64 v[24:25], v[24:25], s[18:19], v[42:43]
	v_fma_f64 v[18:19], v[40:41], s[20:21], v[22:23]
	s_delay_alu instid0(VALU_DEP_2) | instskip(SKIP_2) | instid1(VALU_DEP_4)
	v_add_f64_e32 v[229:230], v[24:25], v[26:27]
	v_add_f64_e64 v[233:234], v[24:25], -v[26:27]
	v_fma_f64 v[24:25], v[48:49], s[22:23], v[237:238]
	v_fma_f64 v[4:5], v[4:5], s[18:19], v[18:19]
	s_delay_alu instid0(VALU_DEP_2) | instskip(NEXT) | instid1(VALU_DEP_2)
	v_fma_f64 v[22:23], v[50:51], s[16:17], v[24:25]
	v_add_f64_e32 v[235:236], v[4:5], v[13:14]
	v_add_f64_e64 v[239:240], v[4:5], -v[13:14]
	v_mad_co_u64_u32 v[3:4], null, 0x90, v46, s[10:11]
	s_delay_alu instid0(VALU_DEP_4) | instskip(NEXT) | instid1(VALU_DEP_1)
	v_fma_f64 v[7:8], v[7:8], s[18:19], v[22:23]
	v_add_f64_e32 v[237:238], v[7:8], v[9:10]
	v_add_f64_e64 v[241:242], v[7:8], -v[9:10]
	ds_store_b128 v181, v[140:143]
	ds_store_b128 v181, v[211:214] offset:48
	ds_store_b128 v181, v[219:222] offset:96
	;; [unrolled: 1-line block ×9, first 2 shown]
	global_wb scope:SCOPE_SE
	s_wait_storecnt_dscnt 0x0
	s_barrier_signal -1
	s_barrier_wait -1
	global_inv scope:SCOPE_SE
	s_clause 0x1
	global_load_b128 v[208:211], v[3:4], off offset:432
	global_load_b128 v[236:239], v[3:4], off offset:448
	ds_load_b128 v[132:135], v148 offset:4320
	ds_load_b128 v[136:139], v148 offset:5760
	s_wait_loadcnt_dscnt 0x101
	v_mul_f64_e32 v[5:6], v[134:135], v[210:211]
	v_mul_f64_e32 v[7:8], v[132:133], v[210:211]
	s_delay_alu instid0(VALU_DEP_2) | instskip(NEXT) | instid1(VALU_DEP_2)
	v_fma_f64 v[70:71], v[132:133], v[208:209], -v[5:6]
	v_fma_f64 v[72:73], v[134:135], v[208:209], v[7:8]
	ds_load_b128 v[132:135], v148 offset:8640
	ds_load_b128 v[140:143], v148 offset:7200
	s_clause 0x1
	global_load_b128 v[216:219], v[3:4], off offset:464
	global_load_b128 v[5:8], v[3:4], off offset:480
	s_wait_loadcnt_dscnt 0x201
	v_mul_f64_e32 v[9:10], v[134:135], v[238:239]
	v_mul_f64_e32 v[11:12], v[132:133], v[238:239]
	s_delay_alu instid0(VALU_DEP_2) | instskip(NEXT) | instid1(VALU_DEP_2)
	v_fma_f64 v[76:77], v[132:133], v[236:237], -v[9:10]
	v_fma_f64 v[82:83], v[134:135], v[236:237], v[11:12]
	ds_load_b128 v[132:135], v148 offset:12960
	ds_load_b128 v[144:147], v148 offset:14400
	s_wait_loadcnt_dscnt 0x101
	v_mul_f64_e32 v[13:14], v[134:135], v[218:219]
	v_mul_f64_e32 v[15:16], v[132:133], v[218:219]
	s_delay_alu instid0(VALU_DEP_2) | instskip(NEXT) | instid1(VALU_DEP_2)
	v_fma_f64 v[13:14], v[132:133], v[216:217], -v[13:14]
	v_fma_f64 v[84:85], v[134:135], v[216:217], v[15:16]
	ds_load_b128 v[132:135], v148 offset:17280
	ds_load_b128 v[151:154], v148 offset:15840
	s_wait_loadcnt 0x0
	scratch_store_b128 off, v[5:8], off offset:1240 ; 16-byte Folded Spill
	s_wait_dscnt 0x1
	v_mul_f64_e32 v[17:18], v[134:135], v[7:8]
	v_mul_f64_e32 v[19:20], v[132:133], v[7:8]
	v_add_f64_e32 v[62:63], v[70:71], v[13:14]
	v_add_f64_e32 v[64:65], v[72:73], v[84:85]
	s_delay_alu instid0(VALU_DEP_4) | instskip(NEXT) | instid1(VALU_DEP_4)
	v_fma_f64 v[17:18], v[132:133], v[5:6], -v[17:18]
	v_fma_f64 v[19:20], v[134:135], v[5:6], v[19:20]
	s_clause 0x1
	global_load_b128 v[232:235], v[3:4], off offset:496
	global_load_b128 v[5:8], v[3:4], off offset:512
	ds_load_b128 v[132:135], v148 offset:21600
	ds_load_b128 v[155:158], v148 offset:23040
	s_wait_loadcnt_dscnt 0x101
	v_mul_f64_e32 v[21:22], v[134:135], v[234:235]
	v_mul_f64_e32 v[23:24], v[132:133], v[234:235]
	s_delay_alu instid0(VALU_DEP_2) | instskip(NEXT) | instid1(VALU_DEP_2)
	v_fma_f64 v[21:22], v[132:133], v[232:233], -v[21:22]
	v_fma_f64 v[25:26], v[134:135], v[232:233], v[23:24]
	ds_load_b128 v[132:135], v148 offset:25920
	ds_load_b128 v[172:175], v148 offset:24480
	s_wait_loadcnt 0x0
	scratch_store_b128 off, v[5:8], off offset:1080 ; 16-byte Folded Spill
	global_load_b128 v[9:12], v[3:4], off offset:528
	s_wait_dscnt 0x1
	v_mul_f64_e32 v[23:24], v[134:135], v[7:8]
	v_add_f64_e32 v[62:63], v[62:63], v[21:22]
	v_add_f64_e32 v[64:65], v[64:65], v[25:26]
	s_delay_alu instid0(VALU_DEP_3) | instskip(SKIP_1) | instid1(VALU_DEP_1)
	v_fma_f64 v[27:28], v[132:133], v[5:6], -v[23:24]
	v_mul_f64_e32 v[23:24], v[132:133], v[7:8]
	v_fma_f64 v[29:30], v[134:135], v[5:6], v[23:24]
	global_load_b128 v[5:8], v[3:4], off offset:544
	v_add_f64_e32 v[54:55], v[19:20], v[29:30]
	s_wait_loadcnt 0x1
	scratch_store_b128 off, v[9:12], off offset:1128 ; 16-byte Folded Spill
	s_wait_loadcnt 0x0
	scratch_store_b128 off, v[5:8], off offset:1064 ; 16-byte Folded Spill
	ds_load_b128 v[132:135], v148 offset:30240
	ds_load_b128 v[164:167], v148 offset:31680
	s_wait_dscnt 0x1
	v_mul_f64_e32 v[23:24], v[134:135], v[11:12]
	s_delay_alu instid0(VALU_DEP_1) | instskip(SKIP_1) | instid1(VALU_DEP_2)
	v_fma_f64 v[31:32], v[132:133], v[9:10], -v[23:24]
	v_mul_f64_e32 v[23:24], v[132:133], v[11:12]
	v_add_f64_e32 v[62:63], v[62:63], v[31:32]
	s_delay_alu instid0(VALU_DEP_2)
	v_fma_f64 v[33:34], v[134:135], v[9:10], v[23:24]
	ds_load_b128 v[132:135], v148 offset:34560
	ds_load_b128 v[240:243], v148 offset:33120
	global_load_b128 v[41:44], v[3:4], off offset:560
	s_wait_dscnt 0x1
	v_mul_f64_e32 v[23:24], v[134:135], v[7:8]
	v_add_f64_e32 v[64:65], v[64:65], v[33:34]
	s_delay_alu instid0(VALU_DEP_2) | instskip(SKIP_1) | instid1(VALU_DEP_2)
	v_fma_f64 v[35:36], v[132:133], v[5:6], -v[23:24]
	v_mul_f64_e32 v[23:24], v[132:133], v[7:8]
	v_add_f64_e64 v[15:16], v[76:77], -v[35:36]
	s_delay_alu instid0(VALU_DEP_2)
	v_fma_f64 v[37:38], v[134:135], v[5:6], v[23:24]
	global_load_b128 v[6:9], v[0:1], off offset:432
	v_add_f64_e64 v[23:24], v[25:26], -v[33:34]
	v_add_f64_e32 v[56:57], v[82:83], v[37:38]
	s_wait_loadcnt 0x1
	scratch_store_b128 off, v[41:44], off offset:1096 ; 16-byte Folded Spill
	ds_load_b128 v[132:135], v148 offset:38880
	ds_load_b128 v[168:171], v148 offset:40320
	global_load_b128 v[47:50], v[0:1], off offset:448
	s_wait_dscnt 0x1
	v_mul_f64_e32 v[3:4], v[134:135], v[43:44]
	v_mul_f64_e32 v[39:40], v[132:133], v[43:44]
	s_delay_alu instid0(VALU_DEP_2) | instskip(NEXT) | instid1(VALU_DEP_2)
	v_fma_f64 v[4:5], v[132:133], v[41:42], -v[3:4]
	v_fma_f64 v[39:40], v[134:135], v[41:42], v[39:40]
	s_wait_loadcnt 0x1
	v_mul_f64_e32 v[41:42], v[138:139], v[8:9]
	scratch_store_b128 off, v[6:9], off offset:1112 ; 16-byte Folded Spill
	v_add_f64_e32 v[62:63], v[62:63], v[4:5]
	v_add_f64_e32 v[64:65], v[64:65], v[39:40]
	v_add_f64_e64 v[178:179], v[84:85], -v[39:40]
	v_fma_f64 v[78:79], v[136:137], v[6:7], -v[41:42]
	v_mul_f64_e32 v[41:42], v[136:137], v[8:9]
	s_delay_alu instid0(VALU_DEP_1)
	v_fma_f64 v[51:52], v[138:139], v[6:7], v[41:42]
	global_load_b128 v[6:9], v[0:1], off offset:464
	s_wait_loadcnt 0x1
	scratch_store_b128 off, v[47:50], off offset:1144 ; 16-byte Folded Spill
	ds_load_b128 v[132:135], v148 offset:10080
	ds_load_b128 v[136:139], v148 offset:11520
	s_wait_dscnt 0x1
	v_mul_f64_e32 v[41:42], v[134:135], v[49:50]
	s_delay_alu instid0(VALU_DEP_1) | instskip(SKIP_1) | instid1(VALU_DEP_1)
	v_fma_f64 v[86:87], v[132:133], v[47:48], -v[41:42]
	v_mul_f64_e32 v[41:42], v[132:133], v[49:50]
	v_fma_f64 v[88:89], v[134:135], v[47:48], v[41:42]
	global_load_b128 v[47:50], v[0:1], off offset:480
	s_wait_loadcnt 0x1
	v_mul_f64_e32 v[41:42], v[146:147], v[8:9]
	scratch_store_b128 off, v[6:9], off offset:1160 ; 16-byte Folded Spill
	v_fma_f64 v[90:91], v[144:145], v[6:7], -v[41:42]
	v_mul_f64_e32 v[41:42], v[144:145], v[8:9]
	s_delay_alu instid0(VALU_DEP_1)
	v_fma_f64 v[92:93], v[146:147], v[6:7], v[41:42]
	global_load_b128 v[6:9], v[0:1], off offset:496
	s_wait_loadcnt 0x1
	scratch_store_b128 off, v[47:50], off offset:1176 ; 16-byte Folded Spill
	ds_load_b128 v[132:135], v148 offset:18720
	ds_load_b128 v[244:247], v148 offset:20160
	s_wait_dscnt 0x1
	v_mul_f64_e32 v[41:42], v[134:135], v[49:50]
	s_delay_alu instid0(VALU_DEP_1) | instskip(SKIP_1) | instid1(VALU_DEP_1)
	v_fma_f64 v[98:99], v[132:133], v[47:48], -v[41:42]
	v_mul_f64_e32 v[41:42], v[132:133], v[49:50]
	v_fma_f64 v[103:104], v[134:135], v[47:48], v[41:42]
	global_load_b128 v[47:50], v[0:1], off offset:512
	s_wait_loadcnt 0x1
	v_mul_f64_e32 v[41:42], v[157:158], v[8:9]
	scratch_store_b128 off, v[6:9], off offset:1208 ; 16-byte Folded Spill
	v_fma_f64 v[105:106], v[155:156], v[6:7], -v[41:42]
	v_mul_f64_e32 v[41:42], v[155:156], v[8:9]
	s_delay_alu instid0(VALU_DEP_1)
	v_fma_f64 v[107:108], v[157:158], v[6:7], v[41:42]
	global_load_b128 v[6:9], v[0:1], off offset:528
	s_wait_loadcnt 0x1
	scratch_store_b128 off, v[47:50], off offset:1740 ; 16-byte Folded Spill
	ds_load_b128 v[132:135], v148 offset:27360
	ds_load_b128 v[248:251], v148 offset:28800
	s_wait_dscnt 0x1
	v_mul_f64_e32 v[41:42], v[134:135], v[49:50]
	s_delay_alu instid0(VALU_DEP_1) | instskip(SKIP_1) | instid1(VALU_DEP_1)
	v_fma_f64 v[109:110], v[132:133], v[47:48], -v[41:42]
	v_mul_f64_e32 v[41:42], v[132:133], v[49:50]
	v_fma_f64 v[111:112], v[134:135], v[47:48], v[41:42]
	global_load_b128 v[47:50], v[0:1], off offset:544
	s_wait_loadcnt 0x1
	v_mul_f64_e32 v[41:42], v[166:167], v[8:9]
	scratch_store_b128 off, v[6:9], off offset:1256 ; 16-byte Folded Spill
	v_fma_f64 v[113:114], v[164:165], v[6:7], -v[41:42]
	v_mul_f64_e32 v[41:42], v[164:165], v[8:9]
	global_load_b128 v[8:11], v[0:1], off offset:560
	v_fma_f64 v[115:116], v[166:167], v[6:7], v[41:42]
	v_add_f64_e64 v[166:167], v[21:22], -v[31:32]
	s_wait_loadcnt 0x1
	scratch_store_b128 off, v[47:50], off offset:1192 ; 16-byte Folded Spill
	ds_load_b128 v[132:135], v148 offset:36000
	ds_load_b128 v[252:255], v148 offset:37440
	s_wait_dscnt 0x1
	v_mul_f64_e32 v[41:42], v[132:133], v[49:50]
	v_mul_f64_e32 v[0:1], v[134:135], v[49:50]
	s_delay_alu instid0(VALU_DEP_2) | instskip(NEXT) | instid1(VALU_DEP_2)
	v_fma_f64 v[117:118], v[134:135], v[47:48], v[41:42]
	v_fma_f64 v[6:7], v[132:133], v[47:48], -v[0:1]
	v_mul_u32_u24_e32 v0, 0x8889, v2
	v_add_f64_e64 v[2:3], v[13:14], -v[4:5]
	s_wait_loadcnt 0x0
	v_mul_f64_e32 v[41:42], v[170:171], v[10:11]
	scratch_store_b128 off, v[8:11], off offset:1224 ; 16-byte Folded Spill
	v_fma_f64 v[119:120], v[168:169], v[8:9], -v[41:42]
	v_mul_f64_e32 v[41:42], v[168:169], v[10:11]
	v_add_f64_e64 v[11:12], v[19:20], -v[29:30]
	s_delay_alu instid0(VALU_DEP_2) | instskip(SKIP_2) | instid1(VALU_DEP_2)
	v_fma_f64 v[121:122], v[170:171], v[8:9], v[41:42]
	v_lshrrev_b32_e32 v171, 20, v0
	v_add_f64_e64 v[9:10], v[82:83], -v[37:38]
	v_mul_lo_u16 v0, v171, 30
	s_delay_alu instid0(VALU_DEP_1) | instskip(NEXT) | instid1(VALU_DEP_1)
	v_sub_nc_u16 v168, v102, v0
	v_mul_lo_u16 v0, 0x90, v168
	s_delay_alu instid0(VALU_DEP_1) | instskip(NEXT) | instid1(VALU_DEP_1)
	v_and_b32_e32 v0, 0xffff, v0
	v_add_co_u32 v41, s33, s10, v0
	s_delay_alu instid0(VALU_DEP_1)
	v_add_co_ci_u32_e64 v42, null, s11, 0, s33
	s_clause 0x8
	global_load_b128 v[212:215], v[41:42], off offset:432
	global_load_b128 v[228:231], v[41:42], off offset:448
	;; [unrolled: 1-line block ×9, first 2 shown]
	v_and_b32_e32 v0, 0xffff, v45
	s_delay_alu instid0(VALU_DEP_1) | instskip(NEXT) | instid1(VALU_DEP_1)
	v_mul_u32_u24_e32 v0, 0x12c, v0
	v_add_lshl_u32 v165, v0, v46, 4
	v_add_f64_e64 v[0:1], v[17:18], -v[27:28]
	s_wait_loadcnt 0x8
	v_mul_f64_e32 v[43:44], v[142:143], v[214:215]
	s_delay_alu instid0(VALU_DEP_1) | instskip(SKIP_1) | instid1(VALU_DEP_1)
	v_fma_f64 v[100:101], v[140:141], v[212:213], -v[43:44]
	v_mul_f64_e32 v[43:44], v[140:141], v[214:215]
	v_fma_f64 v[132:133], v[142:143], v[212:213], v[43:44]
	s_wait_loadcnt 0x7
	v_mul_f64_e32 v[43:44], v[138:139], v[230:231]
	s_delay_alu instid0(VALU_DEP_1) | instskip(SKIP_1) | instid1(VALU_DEP_1)
	v_fma_f64 v[134:135], v[136:137], v[228:229], -v[43:44]
	v_mul_f64_e32 v[43:44], v[136:137], v[230:231]
	v_fma_f64 v[136:137], v[138:139], v[228:229], v[43:44]
	;; [unrolled: 6-line block ×7, first 2 shown]
	ds_load_b128 v[240:243], v148 offset:41760
	ds_load_b128 v[244:247], v148
	s_wait_loadcnt_dscnt 0x102
	v_mul_f64_e32 v[43:44], v[254:255], v[192:193]
	s_wait_loadcnt_dscnt 0x1
	v_mul_f64_e32 v[41:42], v[242:243], v[226:227]
	s_wait_dscnt 0x0
	v_add_f64_e32 v[58:59], v[244:245], v[76:77]
	v_add_f64_e32 v[60:61], v[246:247], v[82:83]
	v_fma_f64 v[54:55], v[54:55], -0.5, v[246:247]
	v_fma_f64 v[56:57], v[56:57], -0.5, v[246:247]
	v_fma_f64 v[159:160], v[252:253], v[190:191], -v[43:44]
	v_mul_f64_e32 v[43:44], v[252:253], v[192:193]
	v_fma_f64 v[66:67], v[240:241], v[224:225], -v[41:42]
	v_add_f64_e32 v[58:59], v[58:59], v[17:18]
	v_mul_f64_e32 v[41:42], v[240:241], v[226:227]
	v_add_f64_e32 v[60:61], v[60:61], v[19:20]
	v_fma_f64 v[96:97], v[254:255], v[190:191], v[43:44]
	v_add_f64_e32 v[43:44], v[76:77], v[35:36]
	ds_load_b128 v[248:251], v148 offset:1440
	ds_load_b128 v[252:255], v148 offset:2880
	global_wb scope:SCOPE_SE
	s_wait_storecnt_dscnt 0x0
	s_barrier_signal -1
	s_barrier_wait -1
	global_inv scope:SCOPE_SE
	v_add_f64_e32 v[58:59], v[58:59], v[27:28]
	v_fma_f64 v[68:69], v[242:243], v[224:225], v[41:42]
	v_add_f64_e32 v[41:42], v[17:18], v[27:28]
	v_add_f64_e32 v[60:61], v[60:61], v[29:30]
	v_fma_f64 v[43:44], v[43:44], -0.5, v[244:245]
	v_add_f64_e32 v[58:59], v[58:59], v[35:36]
	s_delay_alu instid0(VALU_DEP_4) | instskip(NEXT) | instid1(VALU_DEP_4)
	v_fma_f64 v[41:42], v[41:42], -0.5, v[244:245]
	v_add_f64_e32 v[60:61], v[60:61], v[37:38]
	s_delay_alu instid0(VALU_DEP_3)
	v_add_f64_e32 v[240:241], v[58:59], v[62:63]
	v_add_f64_e64 v[244:245], v[58:59], -v[62:63]
	v_add_f64_e32 v[58:59], v[98:99], v[109:110]
	v_add_f64_e32 v[62:63], v[78:79], v[90:91]
	;; [unrolled: 1-line block ×3, first 2 shown]
	v_add_f64_e64 v[246:247], v[60:61], -v[64:65]
	v_add_f64_e32 v[60:61], v[250:251], v[88:89]
	v_add_f64_e32 v[64:65], v[51:52], v[92:93]
	ds_store_b128 v165, v[240:243]
	ds_store_b128 v165, v[244:247] offset:2400
	v_fma_f64 v[128:129], v[58:59], -0.5, v[248:249]
	v_add_f64_e32 v[58:59], v[86:87], v[6:7]
	v_add_f64_e32 v[62:63], v[62:63], v[105:106]
	;; [unrolled: 1-line block ×4, first 2 shown]
	v_fma_f64 v[240:241], v[15:16], s[24:25], v[54:55]
	v_fma_f64 v[130:131], v[58:59], -0.5, v[248:249]
	v_add_f64_e32 v[58:59], v[103:104], v[111:112]
	v_add_f64_e32 v[62:63], v[62:63], v[113:114]
	;; [unrolled: 1-line block ×4, first 2 shown]
	v_fma_f64 v[240:241], v[0:1], s[20:21], v[240:241]
	v_fma_f64 v[80:81], v[58:59], -0.5, v[250:251]
	v_add_f64_e32 v[58:59], v[88:89], v[117:118]
	v_add_f64_e32 v[62:63], v[62:63], v[119:120]
	;; [unrolled: 1-line block ×4, first 2 shown]
	s_delay_alu instid0(VALU_DEP_4) | instskip(SKIP_1) | instid1(VALU_DEP_3)
	v_fma_f64 v[49:50], v[58:59], -0.5, v[250:251]
	v_add_f64_e32 v[58:59], v[248:249], v[86:87]
	v_add_f64_e32 v[250:251], v[60:61], v[64:65]
	v_add_f64_e64 v[125:126], v[60:61], -v[64:65]
	v_add_f64_e32 v[60:61], v[254:255], v[136:137]
	v_add_f64_e32 v[64:65], v[132:133], v[140:141]
	;; [unrolled: 1-line block ×3, first 2 shown]
	s_delay_alu instid0(VALU_DEP_3) | instskip(NEXT) | instid1(VALU_DEP_3)
	v_add_f64_e32 v[60:61], v[60:61], v[144:145]
	v_add_f64_e32 v[64:65], v[64:65], v[149:150]
	s_delay_alu instid0(VALU_DEP_3) | instskip(NEXT) | instid1(VALU_DEP_3)
	v_add_f64_e32 v[58:59], v[58:59], v[109:110]
	v_add_f64_e32 v[60:61], v[60:61], v[153:154]
	;; [unrolled: 3-line block ×4, first 2 shown]
	s_delay_alu instid0(VALU_DEP_3) | instskip(SKIP_4) | instid1(VALU_DEP_3)
	v_add_f64_e32 v[248:249], v[58:59], v[62:63]
	v_add_f64_e64 v[123:124], v[58:59], -v[62:63]
	v_add_f64_e32 v[58:59], v[142:143], v[151:152]
	v_add_f64_e32 v[62:63], v[100:101], v[138:139]
	v_add_f64_e64 v[174:175], v[60:61], -v[64:65]
	v_fma_f64 v[176:177], v[58:59], -0.5, v[252:253]
	v_add_f64_e32 v[58:59], v[134:135], v[159:160]
	s_delay_alu instid0(VALU_DEP_4) | instskip(NEXT) | instid1(VALU_DEP_2)
	v_add_f64_e32 v[62:63], v[62:63], v[146:147]
	v_fma_f64 v[163:164], v[58:59], -0.5, v[252:253]
	v_add_f64_e32 v[58:59], v[144:145], v[153:154]
	s_delay_alu instid0(VALU_DEP_3) | instskip(NEXT) | instid1(VALU_DEP_2)
	v_add_f64_e32 v[62:63], v[62:63], v[155:156]
	v_fma_f64 v[169:170], v[58:59], -0.5, v[254:255]
	v_add_f64_e32 v[58:59], v[136:137], v[96:97]
	s_delay_alu instid0(VALU_DEP_3) | instskip(NEXT) | instid1(VALU_DEP_2)
	v_add_f64_e32 v[62:63], v[62:63], v[66:67]
	v_fma_f64 v[161:162], v[58:59], -0.5, v[254:255]
	v_add_f64_e32 v[58:59], v[252:253], v[134:135]
	v_add_f64_e32 v[254:255], v[60:61], v[64:65]
	v_add_f64_e64 v[60:61], v[35:36], -v[27:28]
	v_add_f64_e64 v[64:65], v[4:5], -v[31:32]
	;; [unrolled: 1-line block ×3, first 2 shown]
	v_add_f64_e32 v[58:59], v[58:59], v[142:143]
	s_delay_alu instid0(VALU_DEP_1) | instskip(NEXT) | instid1(VALU_DEP_1)
	v_add_f64_e32 v[58:59], v[58:59], v[151:152]
	v_add_f64_e32 v[58:59], v[58:59], v[159:160]
	s_delay_alu instid0(VALU_DEP_1)
	v_add_f64_e32 v[252:253], v[58:59], v[62:63]
	v_add_f64_e64 v[172:173], v[58:59], -v[62:63]
	v_add_f64_e64 v[58:59], v[76:77], -v[17:18]
	v_add_f64_e64 v[62:63], v[37:38], -v[29:30]
	v_add_f64_e64 v[17:18], v[17:18], -v[76:77]
	v_add_f64_e64 v[29:30], v[29:30], -v[37:38]
	v_add_f64_e32 v[36:37], v[92:93], v[121:122]
	v_add_f64_e32 v[58:59], v[58:59], v[60:61]
	v_add_f64_e64 v[60:61], v[82:83], -v[19:20]
	v_add_f64_e32 v[17:18], v[17:18], v[27:28]
	v_add_f64_e64 v[19:20], v[19:20], -v[82:83]
	s_delay_alu instid0(VALU_DEP_3) | instskip(SKIP_1) | instid1(VALU_DEP_3)
	v_add_f64_e32 v[60:61], v[60:61], v[62:63]
	v_add_f64_e64 v[62:63], v[13:14], -v[21:22]
	v_add_f64_e32 v[19:20], v[19:20], v[29:30]
	s_delay_alu instid0(VALU_DEP_3) | instskip(NEXT) | instid1(VALU_DEP_3)
	v_fma_f64 v[246:247], v[60:61], s[18:19], v[240:241]
	v_add_f64_e32 v[94:95], v[62:63], v[64:65]
	v_add_f64_e64 v[62:63], v[84:85], -v[25:26]
	v_add_f64_e64 v[64:65], v[39:40], -v[33:34]
	s_delay_alu instid0(VALU_DEP_1)
	v_add_f64_e32 v[202:203], v[62:63], v[64:65]
	v_add_f64_e32 v[62:63], v[21:22], v[31:32]
	v_add_f64_e64 v[21:22], v[21:22], -v[13:14]
	v_add_f64_e32 v[13:14], v[13:14], v[4:5]
	v_add_f64_e64 v[4:5], v[31:32], -v[4:5]
	v_add_f64_e32 v[31:32], v[84:85], v[39:40]
	v_fma_f64 v[45:46], v[62:63], -0.5, v[70:71]
	v_add_f64_e32 v[62:63], v[25:26], v[33:34]
	v_add_f64_e64 v[25:26], v[25:26], -v[84:85]
	v_add_f64_e64 v[33:34], v[33:34], -v[39:40]
	v_fma_f64 v[31:32], v[31:32], -0.5, v[72:73]
	v_fma_f64 v[13:14], v[13:14], -0.5, v[70:71]
	v_add_f64_e32 v[4:5], v[21:22], v[4:5]
	v_add_f64_e64 v[38:39], v[115:116], -v[121:122]
	v_fma_f64 v[64:65], v[178:179], s[22:23], v[45:46]
	v_fma_f64 v[47:48], v[62:63], -0.5, v[72:73]
	v_add_f64_e32 v[21:22], v[25:26], v[33:34]
	v_fma_f64 v[25:26], v[166:167], s[22:23], v[31:32]
	v_fma_f64 v[27:28], v[23:24], s[24:25], v[13:14]
	;; [unrolled: 1-line block ×18, first 2 shown]
	v_mul_f64_e32 v[29:30], s[22:23], v[25:26]
	s_delay_alu instid0(VALU_DEP_3) | instskip(SKIP_1) | instid1(VALU_DEP_4)
	v_fma_f64 v[13:14], v[2:3], s[16:17], v[13:14]
	v_fma_f64 v[2:3], v[2:3], s[22:23], v[47:48]
	v_mul_f64_e32 v[74:75], s[16:17], v[62:63]
	s_delay_alu instid0(VALU_DEP_4)
	v_fma_f64 v[29:30], v[27:28], s[18:19], v[29:30]
	v_mul_f64_e32 v[27:28], s[24:25], v[27:28]
	v_fma_f64 v[13:14], v[21:22], s[18:19], v[13:14]
	v_mul_f64_e32 v[21:22], s[28:29], v[4:5]
	v_fma_f64 v[2:3], v[166:167], s[16:17], v[2:3]
	v_add_f64_e64 v[166:167], v[103:104], -v[111:112]
	v_fma_f64 v[74:75], v[64:65], s[26:27], v[74:75]
	v_mul_f64_e32 v[64:65], s[20:21], v[64:65]
	v_fma_f64 v[25:26], v[25:26], s[18:19], v[27:28]
	v_fma_f64 v[27:28], v[11:12], s[24:25], v[43:44]
	;; [unrolled: 1-line block ×3, first 2 shown]
	v_mul_f64_e32 v[13:14], s[28:29], v[13:14]
	v_fma_f64 v[2:3], v[202:203], s[18:19], v[2:3]
	v_add_f64_e64 v[202:203], v[98:99], -v[109:110]
	v_fma_f64 v[62:63], v[62:63], s[26:27], v[64:65]
	v_fma_f64 v[64:65], v[9:10], s[22:23], v[41:42]
	v_add_f64_e32 v[84:85], v[33:34], v[25:26]
	v_add_f64_e64 v[76:77], v[33:34], -v[25:26]
	v_fma_f64 v[25:26], v[11:12], s[22:23], v[43:44]
	v_fma_f64 v[27:28], v[9:10], s[16:17], v[27:28]
	v_add_f64_e64 v[32:33], v[113:114], -v[119:120]
	v_fma_f64 v[4:5], v[4:5], s[24:25], v[13:14]
	v_fma_f64 v[13:14], v[15:16], s[22:23], v[54:55]
	v_add_f64_e64 v[34:35], v[107:108], -v[92:93]
	v_add_f64_e32 v[242:243], v[246:247], v[62:63]
	v_fma_f64 v[64:65], v[11:12], s[16:17], v[64:65]
	v_add_f64_e64 v[246:247], v[246:247], -v[62:63]
	v_fma_f64 v[25:26], v[9:10], s[20:21], v[25:26]
	v_fma_f64 v[27:28], v[17:18], s[18:19], v[27:28]
	;; [unrolled: 1-line block ×4, first 2 shown]
	s_delay_alu instid0(VALU_DEP_4) | instskip(SKIP_1) | instid1(VALU_DEP_4)
	v_fma_f64 v[17:18], v[17:18], s[18:19], v[25:26]
	v_fma_f64 v[25:26], v[0:1], s[24:25], v[56:57]
	;; [unrolled: 1-line block ×4, first 2 shown]
	v_add_f64_e32 v[12:13], v[107:108], v[115:116]
	v_add_f64_e32 v[82:83], v[27:28], v[29:30]
	;; [unrolled: 1-line block ×3, first 2 shown]
	v_add_f64_e64 v[244:245], v[64:65], -v[74:75]
	v_add_f64_e64 v[74:75], v[27:28], -v[29:30]
	v_add_f64_e32 v[30:31], v[90:91], v[119:120]
	v_add_f64_e32 v[62:63], v[17:18], v[21:22]
	v_fma_f64 v[25:26], v[15:16], s[16:17], v[25:26]
	v_fma_f64 v[8:9], v[58:59], s[18:19], v[8:9]
	;; [unrolled: 1-line block ×3, first 2 shown]
	v_fma_f64 v[12:13], v[12:13], -0.5, v[51:52]
	v_add_f64_e64 v[14:15], v[90:91], -v[119:120]
	v_add_f64_e64 v[70:71], v[17:18], -v[21:22]
	;; [unrolled: 1-line block ×3, first 2 shown]
	v_fma_f64 v[51:52], v[36:37], -0.5, v[51:52]
	v_fma_f64 v[19:20], v[19:20], s[18:19], v[25:26]
	s_delay_alu instid0(VALU_DEP_1)
	v_add_f64_e32 v[64:65], v[19:20], v[4:5]
	v_add_f64_e64 v[72:73], v[19:20], -v[4:5]
	v_fma_f64 v[4:5], v[178:179], s[24:25], v[45:46]
	v_fma_f64 v[18:19], v[14:15], s[24:25], v[12:13]
	v_add_f64_e64 v[20:21], v[92:93], -v[121:122]
	v_add_f64_e64 v[178:179], v[86:87], -v[6:7]
	v_fma_f64 v[12:13], v[14:15], s[22:23], v[12:13]
	v_fma_f64 v[4:5], v[23:24], s[20:21], v[4:5]
	;; [unrolled: 1-line block ×3, first 2 shown]
	v_add_f64_e64 v[22:23], v[107:108], -v[115:116]
	v_fma_f64 v[28:29], v[178:179], s[24:25], v[80:81]
	v_fma_f64 v[12:13], v[16:17], s[16:17], v[12:13]
	;; [unrolled: 1-line block ×3, first 2 shown]
	v_add_f64_e64 v[94:95], v[88:89], -v[117:118]
	s_delay_alu instid0(VALU_DEP_4) | instskip(NEXT) | instid1(VALU_DEP_3)
	v_fma_f64 v[28:29], v[202:203], s[20:21], v[28:29]
	v_mul_f64_e32 v[10:11], s[30:31], v[4:5]
	s_delay_alu instid0(VALU_DEP_1) | instskip(SKIP_1) | instid1(VALU_DEP_2)
	v_fma_f64 v[10:11], v[2:3], s[16:17], v[10:11]
	v_mul_f64_e32 v[2:3], s[30:31], v[2:3]
	v_add_f64_e32 v[54:55], v[8:9], v[10:11]
	s_delay_alu instid0(VALU_DEP_2)
	v_fma_f64 v[2:3], v[4:5], s[20:21], v[2:3]
	v_add_f64_e64 v[4:5], v[117:118], -v[111:112]
	v_add_f64_e64 v[58:59], v[8:9], -v[10:11]
	;; [unrolled: 1-line block ×4, first 2 shown]
	v_add_f64_e32 v[56:57], v[0:1], v[2:3]
	v_add_f64_e64 v[60:61], v[0:1], -v[2:3]
	v_add_f64_e64 v[0:1], v[86:87], -v[98:99]
	;; [unrolled: 1-line block ×5, first 2 shown]
	ds_store_b128 v165, v[240:243] offset:480
	ds_store_b128 v165, v[82:85] offset:960
	;; [unrolled: 1-line block ×8, first 2 shown]
	v_add_f64_e32 v[0:1], v[0:1], v[2:3]
	v_add_f64_e64 v[2:3], v[88:89], -v[103:104]
	s_delay_alu instid0(VALU_DEP_1) | instskip(SKIP_1) | instid1(VALU_DEP_2)
	v_add_f64_e32 v[2:3], v[2:3], v[4:5]
	v_add_f64_e64 v[4:5], v[90:91], -v[105:106]
	v_fma_f64 v[28:29], v[2:3], s[18:19], v[28:29]
	s_delay_alu instid0(VALU_DEP_2) | instskip(SKIP_2) | instid1(VALU_DEP_2)
	v_add_f64_e32 v[4:5], v[4:5], v[8:9]
	v_add_f64_e64 v[8:9], v[92:93], -v[107:108]
	v_add_f64_e64 v[107:108], v[136:137], -v[96:97]
	v_add_f64_e32 v[8:9], v[8:9], v[10:11]
	v_add_f64_e32 v[10:11], v[105:106], v[113:114]
	v_add_f64_e64 v[113:114], v[142:143], -v[151:152]
	s_delay_alu instid0(VALU_DEP_3) | instskip(NEXT) | instid1(VALU_DEP_3)
	v_fma_f64 v[18:19], v[8:9], s[18:19], v[18:19]
	v_fma_f64 v[10:11], v[10:11], -0.5, v[78:79]
	s_delay_alu instid0(VALU_DEP_2) | instskip(NEXT) | instid1(VALU_DEP_2)
	v_mul_f64_e32 v[26:27], s[16:17], v[18:19]
	v_fma_f64 v[24:25], v[20:21], s[22:23], v[10:11]
	s_delay_alu instid0(VALU_DEP_1) | instskip(NEXT) | instid1(VALU_DEP_1)
	v_fma_f64 v[24:25], v[22:23], s[16:17], v[24:25]
	v_fma_f64 v[24:25], v[4:5], s[18:19], v[24:25]
	s_delay_alu instid0(VALU_DEP_1) | instskip(SKIP_1) | instid1(VALU_DEP_1)
	v_fma_f64 v[26:27], v[24:25], s[26:27], v[26:27]
	v_mul_f64_e32 v[24:25], s[20:21], v[24:25]
	v_fma_f64 v[18:19], v[18:19], s[26:27], v[24:25]
	v_fma_f64 v[24:25], v[94:95], s[22:23], v[128:129]
	s_delay_alu instid0(VALU_DEP_2) | instskip(NEXT) | instid1(VALU_DEP_2)
	v_add_f64_e32 v[43:44], v[28:29], v[18:19]
	v_fma_f64 v[24:25], v[166:167], s[16:17], v[24:25]
	v_add_f64_e64 v[47:48], v[28:29], -v[18:19]
	v_add_f64_e64 v[18:19], v[98:99], -v[86:87]
	;; [unrolled: 1-line block ×5, first 2 shown]
	v_fma_f64 v[24:25], v[0:1], s[18:19], v[24:25]
	v_add_f64_e32 v[6:7], v[18:19], v[6:7]
	s_delay_alu instid0(VALU_DEP_2)
	v_add_f64_e32 v[41:42], v[24:25], v[26:27]
	v_add_f64_e64 v[45:46], v[24:25], -v[26:27]
	v_add_f64_e64 v[24:25], v[103:104], -v[88:89]
	;; [unrolled: 1-line block ×5, first 2 shown]
	s_delay_alu instid0(VALU_DEP_3) | instskip(SKIP_4) | instid1(VALU_DEP_4)
	v_add_f64_e32 v[18:19], v[24:25], v[26:27]
	v_fma_f64 v[24:25], v[30:31], -0.5, v[78:79]
	v_fma_f64 v[30:31], v[16:17], s[22:23], v[51:52]
	v_add_f64_e32 v[26:27], v[28:29], v[32:33]
	v_add_f64_e32 v[28:29], v[34:35], v[38:39]
	v_fma_f64 v[32:33], v[22:23], s[24:25], v[24:25]
	s_delay_alu instid0(VALU_DEP_4) | instskip(SKIP_1) | instid1(VALU_DEP_3)
	v_fma_f64 v[30:31], v[14:15], s[20:21], v[30:31]
	v_fma_f64 v[24:25], v[22:23], s[22:23], v[24:25]
	;; [unrolled: 1-line block ×3, first 2 shown]
	s_delay_alu instid0(VALU_DEP_3) | instskip(NEXT) | instid1(VALU_DEP_3)
	v_fma_f64 v[30:31], v[28:29], s[18:19], v[30:31]
	v_fma_f64 v[24:25], v[20:21], s[20:21], v[24:25]
	s_delay_alu instid0(VALU_DEP_3) | instskip(NEXT) | instid1(VALU_DEP_3)
	v_fma_f64 v[32:33], v[26:27], s[18:19], v[32:33]
	v_mul_f64_e32 v[34:35], s[22:23], v[30:31]
	s_delay_alu instid0(VALU_DEP_3) | instskip(SKIP_1) | instid1(VALU_DEP_3)
	v_fma_f64 v[24:25], v[26:27], s[18:19], v[24:25]
	v_fma_f64 v[26:27], v[16:17], s[24:25], v[51:52]
	;; [unrolled: 1-line block ×3, first 2 shown]
	v_mul_f64_e32 v[32:33], s[24:25], v[32:33]
	v_fma_f64 v[34:35], v[202:203], s[22:23], v[49:50]
	s_delay_alu instid0(VALU_DEP_4) | instskip(NEXT) | instid1(VALU_DEP_3)
	v_fma_f64 v[26:27], v[14:15], s[16:17], v[26:27]
	v_fma_f64 v[30:31], v[30:31], s[18:19], v[32:33]
	v_fma_f64 v[32:33], v[166:167], s[24:25], v[130:131]
	s_delay_alu instid0(VALU_DEP_4) | instskip(NEXT) | instid1(VALU_DEP_4)
	v_fma_f64 v[34:35], v[178:179], s[20:21], v[34:35]
	v_fma_f64 v[26:27], v[28:29], s[18:19], v[26:27]
	v_mul_f64_e32 v[28:29], s[28:29], v[24:25]
	s_delay_alu instid0(VALU_DEP_4) | instskip(NEXT) | instid1(VALU_DEP_4)
	v_fma_f64 v[32:33], v[94:95], s[16:17], v[32:33]
	v_fma_f64 v[78:79], v[18:19], s[18:19], v[34:35]
	s_delay_alu instid0(VALU_DEP_2) | instskip(NEXT) | instid1(VALU_DEP_2)
	v_fma_f64 v[39:40], v[6:7], s[18:19], v[32:33]
	v_add_f64_e32 v[35:36], v[78:79], v[30:31]
	s_delay_alu instid0(VALU_DEP_2) | instskip(SKIP_3) | instid1(VALU_DEP_1)
	v_add_f64_e32 v[33:34], v[39:40], v[37:38]
	v_add_f64_e64 v[37:38], v[39:40], -v[37:38]
	v_add_f64_e64 v[39:40], v[78:79], -v[30:31]
	v_fma_f64 v[30:31], v[166:167], s[22:23], v[130:131]
	v_fma_f64 v[30:31], v[94:95], s[20:21], v[30:31]
	s_delay_alu instid0(VALU_DEP_1) | instskip(SKIP_1) | instid1(VALU_DEP_1)
	v_fma_f64 v[6:7], v[6:7], s[18:19], v[30:31]
	v_fma_f64 v[30:31], v[202:203], s[24:25], v[49:50]
	;; [unrolled: 1-line block ×3, first 2 shown]
	s_delay_alu instid0(VALU_DEP_1) | instskip(SKIP_2) | instid1(VALU_DEP_1)
	v_fma_f64 v[18:19], v[18:19], s[18:19], v[30:31]
	v_fma_f64 v[29:30], v[26:27], s[22:23], v[28:29]
	v_mul_f64_e32 v[26:27], s[28:29], v[26:27]
	v_fma_f64 v[31:32], v[24:25], s[24:25], v[26:27]
	s_delay_alu instid0(VALU_DEP_3)
	v_add_f64_e32 v[25:26], v[6:7], v[29:30]
	v_add_f64_e64 v[29:30], v[6:7], -v[29:30]
	v_fma_f64 v[6:7], v[20:21], s[24:25], v[10:11]
	v_fma_f64 v[10:11], v[94:95], s[24:25], v[128:129]
	v_add_f64_e64 v[94:95], v[138:139], -v[66:67]
	v_and_b32_e32 v24, 0xffff, v53
	s_delay_alu instid0(VALU_DEP_1)
	v_mul_u32_u24_e32 v24, 0x12c, v24
	v_add_f64_e32 v[27:28], v[18:19], v[31:32]
	v_add_f64_e64 v[31:32], v[18:19], -v[31:32]
	v_fma_f64 v[18:19], v[178:179], s[22:23], v[80:81]
	v_fma_f64 v[6:7], v[22:23], s[20:21], v[6:7]
	;; [unrolled: 1-line block ×3, first 2 shown]
	s_delay_alu instid0(VALU_DEP_3) | instskip(NEXT) | instid1(VALU_DEP_3)
	v_fma_f64 v[14:15], v[202:203], s[16:17], v[18:19]
	v_fma_f64 v[4:5], v[4:5], s[18:19], v[6:7]
	;; [unrolled: 1-line block ×3, first 2 shown]
	s_delay_alu instid0(VALU_DEP_4)
	v_fma_f64 v[0:1], v[0:1], s[18:19], v[10:11]
	v_add_f64_e32 v[10:11], v[138:139], v[66:67]
	v_add_f64_e64 v[12:13], v[155:156], -v[66:67]
	v_fma_f64 v[2:3], v[2:3], s[18:19], v[14:15]
	v_mul_f64_e32 v[8:9], s[30:31], v[4:5]
	v_add_f64_e64 v[14:15], v[149:150], -v[140:141]
	s_delay_alu instid0(VALU_DEP_2) | instskip(SKIP_1) | instid1(VALU_DEP_2)
	v_fma_f64 v[8:9], v[6:7], s[16:17], v[8:9]
	v_mul_f64_e32 v[6:7], s[30:31], v[6:7]
	v_add_f64_e32 v[128:129], v[0:1], v[8:9]
	s_delay_alu instid0(VALU_DEP_2)
	v_fma_f64 v[4:5], v[4:5], s[20:21], v[6:7]
	v_add_f64_e64 v[49:50], v[0:1], -v[8:9]
	v_add_f64_e64 v[0:1], v[134:135], -v[142:143]
	v_fma_f64 v[6:7], v[111:112], s[24:25], v[169:170]
	v_add_f64_e64 v[8:9], v[146:147], -v[138:139]
	v_add_f64_e32 v[130:131], v[2:3], v[4:5]
	v_add_f64_e64 v[51:52], v[2:3], -v[4:5]
	v_add_f64_e64 v[2:3], v[159:160], -v[151:152]
	v_fma_f64 v[6:7], v[113:114], s[20:21], v[6:7]
	s_delay_alu instid0(VALU_DEP_2) | instskip(SKIP_2) | instid1(VALU_DEP_1)
	v_add_f64_e32 v[78:79], v[0:1], v[2:3]
	v_add_f64_e64 v[0:1], v[136:137], -v[144:145]
	v_add_f64_e64 v[2:3], v[96:97], -v[153:154]
	v_add_f64_e32 v[80:81], v[0:1], v[2:3]
	v_add_f64_e64 v[0:1], v[138:139], -v[146:147]
	v_add_f64_e64 v[2:3], v[66:67], -v[155:156]
	v_add_f64_e32 v[66:67], v[140:141], v[68:69]
	s_delay_alu instid0(VALU_DEP_4) | instskip(NEXT) | instid1(VALU_DEP_3)
	v_fma_f64 v[6:7], v[80:81], s[18:19], v[6:7]
	v_add_f64_e32 v[86:87], v[0:1], v[2:3]
	v_add_f64_e64 v[0:1], v[140:141], -v[149:150]
	v_add_f64_e64 v[2:3], v[68:69], -v[157:158]
	v_fma_f64 v[66:67], v[66:67], -0.5, v[132:133]
	v_add_f64_e64 v[68:69], v[157:158], -v[68:69]
	s_delay_alu instid0(VALU_DEP_3) | instskip(SKIP_1) | instid1(VALU_DEP_3)
	v_add_f64_e32 v[88:89], v[0:1], v[2:3]
	v_add_f64_e32 v[0:1], v[146:147], v[155:156]
	;; [unrolled: 1-line block ×3, first 2 shown]
	v_add_lshl_u32 v147, v24, v201, 4
	v_mad_u16 v24, 0x12c, v171, v168
	ds_store_b128 v147, v[248:251]
	ds_store_b128 v147, v[41:44] offset:480
	ds_store_b128 v147, v[33:36] offset:960
	;; [unrolled: 1-line block ×9, first 2 shown]
	v_and_b32_e32 v24, 0xffff, v24
	s_delay_alu instid0(VALU_DEP_1) | instskip(SKIP_2) | instid1(VALU_DEP_2)
	v_lshlrev_b32_e32 v146, 4, v24
	v_fma_f64 v[90:91], v[0:1], -0.5, v[100:101]
	v_add_f64_e32 v[0:1], v[149:150], v[157:158]
	v_fma_f64 v[2:3], v[103:104], s[22:23], v[90:91]
	s_delay_alu instid0(VALU_DEP_2) | instskip(NEXT) | instid1(VALU_DEP_2)
	v_fma_f64 v[92:93], v[0:1], -0.5, v[132:133]
	v_fma_f64 v[2:3], v[105:106], s[16:17], v[2:3]
	s_delay_alu instid0(VALU_DEP_2) | instskip(SKIP_1) | instid1(VALU_DEP_3)
	v_fma_f64 v[0:1], v[94:95], s[24:25], v[92:93]
	v_fma_f64 v[92:93], v[94:95], s[22:23], v[92:93]
	;; [unrolled: 1-line block ×3, first 2 shown]
	s_delay_alu instid0(VALU_DEP_3) | instskip(NEXT) | instid1(VALU_DEP_3)
	v_fma_f64 v[0:1], v[98:99], s[20:21], v[0:1]
	v_fma_f64 v[92:93], v[98:99], s[16:17], v[92:93]
	s_delay_alu instid0(VALU_DEP_2) | instskip(NEXT) | instid1(VALU_DEP_1)
	v_fma_f64 v[0:1], v[88:89], s[18:19], v[0:1]
	v_mul_f64_e32 v[4:5], s[16:17], v[0:1]
	s_delay_alu instid0(VALU_DEP_1) | instskip(SKIP_1) | instid1(VALU_DEP_1)
	v_fma_f64 v[4:5], v[2:3], s[26:27], v[4:5]
	v_mul_f64_e32 v[2:3], s[20:21], v[2:3]
	v_fma_f64 v[0:1], v[0:1], s[26:27], v[2:3]
	v_fma_f64 v[2:3], v[107:108], s[22:23], v[176:177]
	s_delay_alu instid0(VALU_DEP_2) | instskip(NEXT) | instid1(VALU_DEP_2)
	v_add_f64_e32 v[18:19], v[6:7], v[0:1]
	v_fma_f64 v[2:3], v[109:110], s[16:17], v[2:3]
	v_add_f64_e64 v[22:23], v[6:7], -v[0:1]
	v_add_f64_e64 v[0:1], v[142:143], -v[134:135]
	;; [unrolled: 1-line block ×3, first 2 shown]
	s_delay_alu instid0(VALU_DEP_4) | instskip(NEXT) | instid1(VALU_DEP_1)
	v_fma_f64 v[2:3], v[78:79], s[18:19], v[2:3]
	v_add_f64_e32 v[16:17], v[2:3], v[4:5]
	v_add_f64_e64 v[20:21], v[2:3], -v[4:5]
	v_add_f64_e64 v[2:3], v[151:152], -v[159:160]
	;; [unrolled: 1-line block ×3, first 2 shown]
	s_delay_alu instid0(VALU_DEP_2) | instskip(NEXT) | instid1(VALU_DEP_2)
	v_add_f64_e32 v[0:1], v[0:1], v[2:3]
	v_add_f64_e32 v[2:3], v[4:5], v[6:7]
	v_fma_f64 v[4:5], v[10:11], -0.5, v[100:101]
	v_add_f64_e32 v[6:7], v[8:9], v[12:13]
	v_fma_f64 v[8:9], v[98:99], s[22:23], v[66:67]
	s_delay_alu instid0(VALU_DEP_3) | instskip(NEXT) | instid1(VALU_DEP_2)
	v_fma_f64 v[10:11], v[105:106], s[24:25], v[4:5]
	v_fma_f64 v[8:9], v[94:95], s[20:21], v[8:9]
	s_delay_alu instid0(VALU_DEP_2) | instskip(NEXT) | instid1(VALU_DEP_2)
	v_fma_f64 v[10:11], v[103:104], s[16:17], v[10:11]
	v_fma_f64 v[8:9], v[68:69], s[18:19], v[8:9]
	s_delay_alu instid0(VALU_DEP_2) | instskip(NEXT) | instid1(VALU_DEP_2)
	v_fma_f64 v[10:11], v[6:7], s[18:19], v[10:11]
	v_mul_f64_e32 v[12:13], s[22:23], v[8:9]
	s_delay_alu instid0(VALU_DEP_1) | instskip(SKIP_1) | instid1(VALU_DEP_1)
	v_fma_f64 v[12:13], v[10:11], s[18:19], v[12:13]
	v_mul_f64_e32 v[10:11], s[24:25], v[10:11]
	v_fma_f64 v[14:15], v[8:9], s[18:19], v[10:11]
	v_fma_f64 v[8:9], v[109:110], s[24:25], v[163:164]
	v_fma_f64 v[10:11], v[113:114], s[22:23], v[161:162]
	s_delay_alu instid0(VALU_DEP_2) | instskip(NEXT) | instid1(VALU_DEP_2)
	v_fma_f64 v[8:9], v[107:108], s[16:17], v[8:9]
	v_fma_f64 v[10:11], v[111:112], s[20:21], v[10:11]
	s_delay_alu instid0(VALU_DEP_2) | instskip(NEXT) | instid1(VALU_DEP_2)
	v_fma_f64 v[96:97], v[0:1], s[18:19], v[8:9]
	v_fma_f64 v[100:101], v[2:3], s[18:19], v[10:11]
	s_delay_alu instid0(VALU_DEP_2) | instskip(SKIP_2) | instid1(VALU_DEP_4)
	v_add_f64_e32 v[8:9], v[96:97], v[12:13]
	v_add_f64_e64 v[12:13], v[96:97], -v[12:13]
	v_fma_f64 v[96:97], v[109:110], s[22:23], v[163:164]
	v_add_f64_e32 v[10:11], v[100:101], v[14:15]
	v_add_f64_e64 v[14:15], v[100:101], -v[14:15]
	s_delay_alu instid0(VALU_DEP_3) | instskip(NEXT) | instid1(VALU_DEP_1)
	v_fma_f64 v[96:97], v[107:108], s[20:21], v[96:97]
	v_fma_f64 v[96:97], v[0:1], s[18:19], v[96:97]
	;; [unrolled: 1-line block ×3, first 2 shown]
	s_delay_alu instid0(VALU_DEP_1) | instskip(NEXT) | instid1(VALU_DEP_1)
	v_fma_f64 v[0:1], v[111:112], s[16:17], v[0:1]
	v_fma_f64 v[100:101], v[2:3], s[18:19], v[0:1]
	;; [unrolled: 1-line block ×6, first 2 shown]
	s_delay_alu instid0(VALU_DEP_4) | instskip(NEXT) | instid1(VALU_DEP_4)
	v_fma_f64 v[2:3], v[94:95], s[16:17], v[2:3]
	v_fma_f64 v[0:1], v[103:104], s[20:21], v[0:1]
	s_delay_alu instid0(VALU_DEP_4) | instskip(NEXT) | instid1(VALU_DEP_4)
	v_fma_f64 v[66:67], v[105:106], s[20:21], v[66:67]
	v_fma_f64 v[90:91], v[113:114], s[16:17], v[90:91]
	s_delay_alu instid0(VALU_DEP_4) | instskip(SKIP_3) | instid1(VALU_DEP_3)
	v_fma_f64 v[2:3], v[68:69], s[18:19], v[2:3]
	v_fma_f64 v[68:69], v[107:108], s[24:25], v[176:177]
	v_fma_f64 v[0:1], v[6:7], s[18:19], v[0:1]
	v_fma_f64 v[66:67], v[86:87], s[18:19], v[66:67]
	v_fma_f64 v[68:69], v[109:110], s[20:21], v[68:69]
	s_delay_alu instid0(VALU_DEP_3) | instskip(NEXT) | instid1(VALU_DEP_3)
	v_mul_f64_e32 v[4:5], s[28:29], v[0:1]
	v_mul_f64_e32 v[86:87], s[30:31], v[66:67]
	s_delay_alu instid0(VALU_DEP_3) | instskip(SKIP_4) | instid1(VALU_DEP_3)
	v_fma_f64 v[68:69], v[78:79], s[18:19], v[68:69]
	v_fma_f64 v[78:79], v[80:81], s[18:19], v[90:91]
	v_fma_f64 v[80:81], v[88:89], s[18:19], v[92:93]
	v_fma_f64 v[4:5], v[2:3], s[22:23], v[4:5]
	v_mul_f64_e32 v[2:3], s[28:29], v[2:3]
	v_fma_f64 v[86:87], v[80:81], s[16:17], v[86:87]
	v_mul_f64_e32 v[80:81], s[30:31], v[80:81]
	s_delay_alu instid0(VALU_DEP_3)
	v_fma_f64 v[6:7], v[0:1], s[24:25], v[2:3]
	v_add_f64_e32 v[0:1], v[96:97], v[4:5]
	v_add_f64_e64 v[4:5], v[96:97], -v[4:5]
	v_add_f64_e32 v[90:91], v[68:69], v[86:87]
	v_fma_f64 v[66:67], v[66:67], s[20:21], v[80:81]
	v_add_f64_e32 v[2:3], v[100:101], v[6:7]
	v_add_f64_e64 v[6:7], v[100:101], -v[6:7]
	v_add_f64_e64 v[86:87], v[68:69], -v[86:87]
	s_delay_alu instid0(VALU_DEP_4)
	v_add_f64_e32 v[92:93], v[78:79], v[66:67]
	v_add_f64_e64 v[88:89], v[78:79], -v[66:67]
	ds_store_b128 v146, v[252:255]
	ds_store_b128 v146, v[16:19] offset:480
	ds_store_b128 v146, v[8:11] offset:960
	;; [unrolled: 1-line block ×9, first 2 shown]
	global_wb scope:SCOPE_SE
	s_wait_dscnt 0x0
	s_barrier_signal -1
	s_barrier_wait -1
	global_inv scope:SCOPE_SE
	scratch_load_b32 v48, off, off          ; 4-byte Folded Reload
	s_wait_loadcnt 0x0
	v_lshlrev_b32_e32 v4, 5, v48
	s_clause 0x1
	global_load_b128 v[11:14], v4, s[10:11] offset:4752
	global_load_b128 v[15:18], v4, s[10:11] offset:4768
	ds_load_b128 v[0:3], v148 offset:14400
	ds_load_b128 v[7:10], v148 offset:12960
	s_wait_loadcnt_dscnt 0x101
	v_mul_f64_e32 v[5:6], v[2:3], v[13:14]
	scratch_store_b128 off, v[11:14], off offset:824 ; 16-byte Folded Spill
	v_fma_f64 v[24:25], v[0:1], v[11:12], -v[5:6]
	v_mul_f64_e32 v[0:1], v[0:1], v[13:14]
	s_delay_alu instid0(VALU_DEP_1) | instskip(SKIP_4) | instid1(VALU_DEP_1)
	v_fma_f64 v[26:27], v[2:3], v[11:12], v[0:1]
	ds_load_b128 v[0:3], v148 offset:28800
	ds_load_b128 v[11:14], v148 offset:27360
	s_wait_loadcnt_dscnt 0x1
	v_mul_f64_e32 v[5:6], v[2:3], v[17:18]
	v_fma_f64 v[28:29], v[0:1], v[15:16], -v[5:6]
	v_lshlrev_b32_e32 v6, 5, v180
	v_mul_f64_e32 v[0:1], v[0:1], v[17:18]
	v_lshlrev_b32_e32 v5, 5, v102
	s_clause 0x1
	global_load_b128 v[34:37], v6, s[10:11] offset:4752
	global_load_b128 v[40:43], v6, s[10:11] offset:4768
	scratch_store_b128 off, v[15:18], off offset:808 ; 16-byte Folded Spill
	v_fma_f64 v[30:31], v[2:3], v[15:16], v[0:1]
	s_wait_loadcnt 0x1
	scratch_store_b128 off, v[34:37], off offset:856 ; 16-byte Folded Spill
	s_wait_loadcnt 0x0
	scratch_store_b128 off, v[40:43], off offset:840 ; 16-byte Folded Spill
	ds_load_b128 v[0:3], v148 offset:15840
	ds_load_b128 v[16:19], v148 offset:17280
	s_wait_dscnt 0x1
	v_mul_f64_e32 v[20:21], v[2:3], v[36:37]
	s_delay_alu instid0(VALU_DEP_1) | instskip(SKIP_1) | instid1(VALU_DEP_1)
	v_fma_f64 v[32:33], v[0:1], v[34:35], -v[20:21]
	v_mul_f64_e32 v[0:1], v[0:1], v[36:37]
	v_fma_f64 v[34:35], v[2:3], v[34:35], v[0:1]
	ds_load_b128 v[0:3], v148 offset:30240
	ds_load_b128 v[20:23], v148 offset:31680
	s_clause 0x1
	global_load_b128 v[49:52], v5, s[10:11] offset:4752
	global_load_b128 v[44:47], v5, s[10:11] offset:4768
	scratch_load_b32 v144, off, off offset:584 th:TH_LOAD_LU ; 4-byte Folded Reload
	s_wait_dscnt 0x1
	v_mul_f64_e32 v[36:37], v[2:3], v[42:43]
	s_delay_alu instid0(VALU_DEP_1) | instskip(SKIP_1) | instid1(VALU_DEP_1)
	v_fma_f64 v[36:37], v[0:1], v[40:41], -v[36:37]
	v_mul_f64_e32 v[0:1], v[0:1], v[42:43]
	v_fma_f64 v[38:39], v[2:3], v[40:41], v[0:1]
	scratch_load_b32 v2, off, off offset:504 th:TH_LOAD_LU ; 4-byte Folded Reload
	s_wait_loadcnt 0x3
	v_mul_f64_e32 v[0:1], v[18:19], v[51:52]
	s_delay_alu instid0(VALU_DEP_1) | instskip(SKIP_1) | instid1(VALU_DEP_1)
	v_fma_f64 v[40:41], v[16:17], v[49:50], -v[0:1]
	v_mul_f64_e32 v[0:1], v[16:17], v[51:52]
	v_fma_f64 v[42:43], v[18:19], v[49:50], v[0:1]
	s_wait_loadcnt 0x2
	v_mov_b32_e32 v15, v44
	v_dual_mov_b32 v17, v46 :: v_dual_mov_b32 v18, v47
	v_mov_b32_e32 v16, v45
	scratch_store_b128 off, v[49:52], off offset:872 ; 16-byte Folded Spill
	s_wait_dscnt 0x0
	v_mul_f64_e32 v[0:1], v[22:23], v[17:18]
	scratch_store_b128 off, v[15:18], off offset:888 ; 16-byte Folded Spill
	v_fma_f64 v[44:45], v[20:21], v[15:16], -v[0:1]
	v_mul_f64_e32 v[0:1], v[20:21], v[17:18]
	s_delay_alu instid0(VALU_DEP_1)
	v_fma_f64 v[46:47], v[22:23], v[15:16], v[0:1]
	v_add_co_u32 v0, s33, 0xffffffe2, v48
	s_wait_alu 0xf1ff
	v_add_co_ci_u32_e64 v1, null, 0, -1, s33
	s_wait_loadcnt 0x0
	s_wait_alu 0xfffd
	s_delay_alu instid0(VALU_DEP_1) | instskip(NEXT) | instid1(VALU_DEP_1)
	v_dual_cndmask_b32 v52, v0, v144 :: v_dual_cndmask_b32 v53, v1, v2
	v_lshlrev_b64_e32 v[0:1], 5, v[52:53]
	s_delay_alu instid0(VALU_DEP_1) | instskip(SKIP_1) | instid1(VALU_DEP_2)
	v_add_co_u32 v0, vcc_lo, s10, v0
	s_wait_alu 0xfffd
	v_add_co_ci_u32_e32 v1, vcc_lo, s11, v1, vcc_lo
	v_cmp_lt_u16_e32 vcc_lo, 29, v127
	s_clause 0x1
	global_load_b128 v[48:51], v[0:1], off offset:4752
	global_load_b128 v[59:62], v[0:1], off offset:4768
	s_wait_loadcnt 0x1
	scratch_store_b128 off, v[48:51], off offset:920 ; 16-byte Folded Spill
	s_wait_loadcnt 0x0
	scratch_store_b128 off, v[59:62], off offset:904 ; 16-byte Folded Spill
	ds_load_b128 v[0:3], v148 offset:18720
	ds_load_b128 v[16:19], v148 offset:20160
	s_wait_dscnt 0x1
	v_mul_f64_e32 v[20:21], v[2:3], v[50:51]
	s_delay_alu instid0(VALU_DEP_1) | instskip(SKIP_1) | instid1(VALU_DEP_1)
	v_fma_f64 v[53:54], v[0:1], v[48:49], -v[20:21]
	v_mul_f64_e32 v[0:1], v[0:1], v[50:51]
	v_fma_f64 v[55:56], v[2:3], v[48:49], v[0:1]
	ds_load_b128 v[0:3], v148 offset:33120
	ds_load_b128 v[20:23], v148 offset:34560
	s_clause 0x1
	global_load_b128 v[64:67], v4, s[10:11] offset:6672
	global_load_b128 v[70:73], v4, s[10:11] offset:9568
	s_wait_dscnt 0x1
	v_mul_f64_e32 v[48:49], v[2:3], v[61:62]
	s_delay_alu instid0(VALU_DEP_1) | instskip(SKIP_2) | instid1(VALU_DEP_1)
	v_fma_f64 v[57:58], v[0:1], v[59:60], -v[48:49]
	global_load_b128 v[48:51], v4, s[10:11] offset:6688
	v_mul_f64_e32 v[0:1], v[0:1], v[61:62]
	v_fma_f64 v[59:60], v[2:3], v[59:60], v[0:1]
	s_wait_loadcnt 0x2
	v_mul_f64_e32 v[0:1], v[18:19], v[66:67]
	scratch_store_b128 off, v[64:67], off offset:936 ; 16-byte Folded Spill
	s_wait_loadcnt 0x1
	scratch_store_b128 off, v[70:73], off offset:968 ; 16-byte Folded Spill
	v_fma_f64 v[62:63], v[16:17], v[64:65], -v[0:1]
	v_mul_f64_e32 v[0:1], v[16:17], v[66:67]
	s_wait_loadcnt 0x0
	scratch_store_b128 off, v[48:51], off offset:952 ; 16-byte Folded Spill
	v_fma_f64 v[64:65], v[18:19], v[64:65], v[0:1]
	s_wait_dscnt 0x0
	v_mul_f64_e32 v[0:1], v[22:23], v[50:51]
	s_delay_alu instid0(VALU_DEP_1) | instskip(SKIP_1) | instid1(VALU_DEP_1)
	v_fma_f64 v[66:67], v[20:21], v[48:49], -v[0:1]
	v_mul_f64_e32 v[0:1], v[20:21], v[50:51]
	v_fma_f64 v[68:69], v[22:23], v[48:49], v[0:1]
	global_load_b128 v[48:51], v4, s[10:11] offset:9552
	s_wait_loadcnt 0x0
	scratch_store_b128 off, v[48:51], off offset:984 ; 16-byte Folded Spill
	ds_load_b128 v[0:3], v148 offset:21600
	ds_load_b128 v[16:19], v148 offset:23040
	s_wait_dscnt 0x1
	v_mul_f64_e32 v[20:21], v[2:3], v[50:51]
	s_delay_alu instid0(VALU_DEP_1) | instskip(SKIP_1) | instid1(VALU_DEP_1)
	v_fma_f64 v[78:79], v[0:1], v[48:49], -v[20:21]
	v_mul_f64_e32 v[0:1], v[0:1], v[50:51]
	v_fma_f64 v[80:81], v[2:3], v[48:49], v[0:1]
	ds_load_b128 v[0:3], v148 offset:36000
	ds_load_b128 v[20:23], v148 offset:37440
	s_clause 0x1
	scratch_load_b32 v151, off, off offset:680 th:TH_LOAD_LU
	scratch_load_b32 v150, off, off offset:712 th:TH_LOAD_LU
	s_wait_dscnt 0x1
	v_mul_f64_e32 v[48:49], v[2:3], v[72:73]
	s_delay_alu instid0(VALU_DEP_1) | instskip(SKIP_1) | instid1(VALU_DEP_1)
	v_fma_f64 v[82:83], v[0:1], v[70:71], -v[48:49]
	v_mul_f64_e32 v[0:1], v[0:1], v[72:73]
	v_fma_f64 v[84:85], v[2:3], v[70:71], v[0:1]
	s_wait_loadcnt 0x1
	v_lshrrev_b16 v0, 2, v151
	s_delay_alu instid0(VALU_DEP_1) | instskip(NEXT) | instid1(VALU_DEP_1)
	v_and_b32_e32 v0, 0xffff, v0
	v_mul_u32_u24_e32 v0, 0x6d3b, v0
	s_delay_alu instid0(VALU_DEP_1) | instskip(NEXT) | instid1(VALU_DEP_1)
	v_lshrrev_b32_e32 v100, 21, v0
	v_mul_lo_u16 v0, 0x12c, v100
	s_delay_alu instid0(VALU_DEP_1) | instskip(NEXT) | instid1(VALU_DEP_1)
	v_sub_nc_u16 v140, v151, v0
	v_lshlrev_b16 v0, 5, v140
	s_delay_alu instid0(VALU_DEP_1) | instskip(NEXT) | instid1(VALU_DEP_1)
	v_and_b32_e32 v0, 0xffff, v0
	v_add_co_u32 v0, s33, s10, v0
	s_wait_alu 0xf1ff
	v_add_co_ci_u32_e64 v1, null, s11, 0, s33
	s_clause 0x1
	global_load_b128 v[70:73], v[0:1], off offset:4752
	global_load_b128 v[48:51], v[0:1], off offset:4768
	s_wait_loadcnt 0x1
	v_mul_f64_e32 v[0:1], v[18:19], v[72:73]
	scratch_store_b128 off, v[70:73], off offset:1000 ; 16-byte Folded Spill
	s_wait_loadcnt 0x0
	scratch_store_b128 off, v[48:51], off offset:1016 ; 16-byte Folded Spill
	v_fma_f64 v[86:87], v[16:17], v[70:71], -v[0:1]
	v_mul_f64_e32 v[0:1], v[16:17], v[72:73]
	s_delay_alu instid0(VALU_DEP_1) | instskip(SKIP_2) | instid1(VALU_DEP_1)
	v_fma_f64 v[88:89], v[18:19], v[70:71], v[0:1]
	s_wait_dscnt 0x0
	v_mul_f64_e32 v[0:1], v[22:23], v[50:51]
	v_fma_f64 v[90:91], v[20:21], v[48:49], -v[0:1]
	v_mul_f64_e32 v[0:1], v[20:21], v[50:51]
	s_delay_alu instid0(VALU_DEP_1) | instskip(SKIP_1) | instid1(VALU_DEP_1)
	v_fma_f64 v[92:93], v[22:23], v[48:49], v[0:1]
	v_lshrrev_b16 v0, 2, v150
	v_and_b32_e32 v0, 0xffff, v0
	s_delay_alu instid0(VALU_DEP_1) | instskip(NEXT) | instid1(VALU_DEP_1)
	v_mul_u32_u24_e32 v0, 0x6d3b, v0
	v_lshrrev_b32_e32 v0, 21, v0
	s_delay_alu instid0(VALU_DEP_1) | instskip(NEXT) | instid1(VALU_DEP_1)
	v_mul_lo_u16 v0, 0x12c, v0
	v_sub_nc_u16 v141, v150, v0
	s_delay_alu instid0(VALU_DEP_1) | instskip(NEXT) | instid1(VALU_DEP_1)
	v_lshlrev_b16 v0, 5, v141
	v_and_b32_e32 v0, 0xffff, v0
	s_delay_alu instid0(VALU_DEP_1)
	v_add_co_u32 v0, s33, s10, v0
	s_wait_alu 0xf1ff
	v_add_co_ci_u32_e64 v1, null, s11, 0, s33
	s_clause 0x1
	global_load_b128 v[48:51], v[0:1], off offset:4752
	global_load_b128 v[70:73], v[0:1], off offset:4768
	s_wait_loadcnt 0x1
	scratch_store_b128 off, v[48:51], off offset:1048 ; 16-byte Folded Spill
	s_wait_loadcnt 0x0
	scratch_store_b128 off, v[70:73], off offset:1032 ; 16-byte Folded Spill
	ds_load_b128 v[0:3], v148 offset:24480
	ds_load_b128 v[16:19], v148 offset:25920
	s_wait_dscnt 0x1
	v_mul_f64_e32 v[20:21], v[2:3], v[50:51]
	s_delay_alu instid0(VALU_DEP_1) | instskip(SKIP_1) | instid1(VALU_DEP_1)
	v_fma_f64 v[94:95], v[0:1], v[48:49], -v[20:21]
	v_mul_f64_e32 v[0:1], v[0:1], v[50:51]
	v_fma_f64 v[96:97], v[2:3], v[48:49], v[0:1]
	ds_load_b128 v[0:3], v148 offset:38880
	ds_load_b128 v[20:23], v148 offset:40320
	scratch_load_b32 v149, off, off offset:744 th:TH_LOAD_LU ; 4-byte Folded Reload
	s_wait_dscnt 0x1
	v_mul_f64_e32 v[48:49], v[2:3], v[72:73]
	s_delay_alu instid0(VALU_DEP_1) | instskip(SKIP_1) | instid1(VALU_DEP_1)
	v_fma_f64 v[98:99], v[0:1], v[70:71], -v[48:49]
	v_mul_f64_e32 v[0:1], v[0:1], v[72:73]
	v_fma_f64 v[109:110], v[2:3], v[70:71], v[0:1]
	v_add_f64_e64 v[70:71], v[55:56], -v[59:60]
	s_wait_loadcnt 0x0
	v_lshrrev_b16 v0, 2, v149
	s_delay_alu instid0(VALU_DEP_1) | instskip(NEXT) | instid1(VALU_DEP_1)
	v_and_b32_e32 v0, 0xffff, v0
	v_mul_u32_u24_e32 v0, 0x6d3b, v0
	s_delay_alu instid0(VALU_DEP_1) | instskip(NEXT) | instid1(VALU_DEP_1)
	v_lshrrev_b32_e32 v0, 21, v0
	v_mul_lo_u16 v0, 0x12c, v0
	s_delay_alu instid0(VALU_DEP_1) | instskip(NEXT) | instid1(VALU_DEP_1)
	v_sub_nc_u16 v142, v149, v0
	v_lshlrev_b16 v0, 5, v142
	s_delay_alu instid0(VALU_DEP_1) | instskip(NEXT) | instid1(VALU_DEP_1)
	v_and_b32_e32 v0, 0xffff, v0
	v_add_co_u32 v0, s33, s10, v0
	s_wait_alu 0xf1ff
	v_add_co_ci_u32_e64 v1, null, s11, 0, s33
	s_clause 0x1
	global_load_b128 v[248:251], v[0:1], off offset:4752
	global_load_b128 v[252:255], v[0:1], off offset:4768
	scratch_load_b32 v145, off, off offset:776 th:TH_LOAD_LU ; 4-byte Folded Reload
	s_wait_loadcnt 0x2
	v_mul_f64_e32 v[0:1], v[18:19], v[250:251]
	s_delay_alu instid0(VALU_DEP_1) | instskip(SKIP_1) | instid1(VALU_DEP_1)
	v_fma_f64 v[111:112], v[16:17], v[248:249], -v[0:1]
	v_mul_f64_e32 v[0:1], v[16:17], v[250:251]
	v_fma_f64 v[15:16], v[18:19], v[248:249], v[0:1]
	s_wait_loadcnt_dscnt 0x100
	v_mul_f64_e32 v[0:1], v[22:23], v[254:255]
	s_delay_alu instid0(VALU_DEP_1) | instskip(SKIP_1) | instid1(VALU_DEP_1)
	v_fma_f64 v[17:18], v[20:21], v[252:253], -v[0:1]
	v_mul_f64_e32 v[0:1], v[20:21], v[254:255]
	v_fma_f64 v[125:126], v[22:23], v[252:253], v[0:1]
	s_wait_loadcnt 0x0
	v_lshrrev_b16 v0, 2, v145
	s_delay_alu instid0(VALU_DEP_1) | instskip(NEXT) | instid1(VALU_DEP_1)
	v_and_b32_e32 v0, 0xffff, v0
	v_mul_u32_u24_e32 v0, 0x6d3b, v0
	s_delay_alu instid0(VALU_DEP_1) | instskip(NEXT) | instid1(VALU_DEP_1)
	v_lshrrev_b32_e32 v0, 21, v0
	v_mul_lo_u16 v0, 0x12c, v0
	s_delay_alu instid0(VALU_DEP_1) | instskip(NEXT) | instid1(VALU_DEP_1)
	v_sub_nc_u16 v143, v145, v0
	v_lshlrev_b16 v0, 5, v143
	s_delay_alu instid0(VALU_DEP_1) | instskip(NEXT) | instid1(VALU_DEP_1)
	v_and_b32_e32 v0, 0xffff, v0
	v_add_co_u32 v0, s33, s10, v0
	s_wait_alu 0xf1ff
	v_add_co_ci_u32_e64 v1, null, s11, 0, s33
	s_clause 0x1
	global_load_b128 v[240:243], v[0:1], off offset:4752
	global_load_b128 v[244:247], v[0:1], off offset:4768
	s_wait_loadcnt 0x1
	v_mul_f64_e32 v[0:1], v[13:14], v[242:243]
	s_delay_alu instid0(VALU_DEP_1) | instskip(SKIP_1) | instid1(VALU_DEP_1)
	v_fma_f64 v[132:133], v[11:12], v[240:241], -v[0:1]
	v_mul_f64_e32 v[0:1], v[11:12], v[242:243]
	v_fma_f64 v[134:135], v[13:14], v[240:241], v[0:1]
	ds_load_b128 v[0:3], v148 offset:41760
	ds_load_b128 v[11:14], v148
	s_wait_loadcnt_dscnt 0x1
	v_mul_f64_e32 v[19:20], v[2:3], v[246:247]
	s_delay_alu instid0(VALU_DEP_1) | instskip(SKIP_1) | instid1(VALU_DEP_1)
	v_fma_f64 v[136:137], v[0:1], v[244:245], -v[19:20]
	v_mul_f64_e32 v[0:1], v[0:1], v[246:247]
	v_fma_f64 v[138:139], v[2:3], v[244:245], v[0:1]
	v_add_f64_e32 v[0:1], v[24:25], v[28:29]
	s_wait_dscnt 0x0
	s_delay_alu instid0(VALU_DEP_1) | instskip(SKIP_2) | instid1(VALU_DEP_2)
	v_fma_f64 v[19:20], v[0:1], -0.5, v[11:12]
	v_add_f64_e32 v[0:1], v[26:27], v[30:31]
	v_add_f64_e32 v[11:12], v[11:12], v[24:25]
	v_fma_f64 v[21:22], v[0:1], -0.5, v[13:14]
	v_add_f64_e32 v[0:1], v[13:14], v[26:27]
	v_add_f64_e64 v[13:14], v[26:27], -v[30:31]
	s_delay_alu instid0(VALU_DEP_2) | instskip(SKIP_2) | instid1(VALU_DEP_4)
	v_add_f64_e32 v[2:3], v[0:1], v[30:31]
	v_add_f64_e32 v[0:1], v[11:12], v[28:29]
	v_add_f64_e64 v[11:12], v[24:25], -v[28:29]
	v_fma_f64 v[121:122], v[13:14], s[14:15], v[19:20]
	v_fma_f64 v[117:118], v[13:14], s[12:13], v[19:20]
	v_add_f64_e32 v[13:14], v[34:35], v[38:39]
	v_add_f64_e64 v[30:31], v[34:35], -v[38:39]
	v_fma_f64 v[123:124], v[11:12], s[12:13], v[21:22]
	v_fma_f64 v[119:120], v[11:12], s[14:15], v[21:22]
	v_add_f64_e32 v[11:12], v[32:33], v[36:37]
	ds_load_b128 v[20:23], v148 offset:1440
	ds_load_b128 v[24:27], v148 offset:2880
	s_wait_dscnt 0x1
	v_fma_f64 v[13:14], v[13:14], -0.5, v[22:23]
	v_add_f64_e32 v[22:23], v[22:23], v[34:35]
	v_add_f64_e64 v[34:35], v[32:33], -v[36:37]
	v_fma_f64 v[11:12], v[11:12], -0.5, v[20:21]
	v_add_f64_e32 v[19:20], v[20:21], v[32:33]
	s_delay_alu instid0(VALU_DEP_4) | instskip(SKIP_1) | instid1(VALU_DEP_4)
	v_add_f64_e32 v[22:23], v[22:23], v[38:39]
	v_add_f64_e64 v[38:39], v[42:43], -v[46:47]
	v_fma_f64 v[28:29], v[30:31], s[14:15], v[11:12]
	v_fma_f64 v[32:33], v[30:31], s[12:13], v[11:12]
	;; [unrolled: 1-line block ×4, first 2 shown]
	v_add_f64_e32 v[11:12], v[40:41], v[44:45]
	v_add_f64_e32 v[13:14], v[42:43], v[46:47]
	;; [unrolled: 1-line block ×3, first 2 shown]
	s_wait_dscnt 0x0
	s_delay_alu instid0(VALU_DEP_3) | instskip(NEXT) | instid1(VALU_DEP_3)
	v_fma_f64 v[11:12], v[11:12], -0.5, v[24:25]
	v_fma_f64 v[13:14], v[13:14], -0.5, v[26:27]
	v_add_f64_e32 v[26:27], v[26:27], v[42:43]
	v_add_f64_e64 v[42:43], v[40:41], -v[44:45]
	v_add_f64_e32 v[24:25], v[24:25], v[40:41]
	v_fma_f64 v[36:37], v[38:39], s[14:15], v[11:12]
	v_fma_f64 v[40:41], v[38:39], s[12:13], v[11:12]
	v_add_f64_e32 v[26:27], v[26:27], v[46:47]
	v_fma_f64 v[38:39], v[42:43], s[12:13], v[13:14]
	v_fma_f64 v[42:43], v[42:43], s[14:15], v[13:14]
	v_add_f64_e32 v[13:14], v[55:56], v[59:60]
	v_add_f64_e32 v[24:25], v[24:25], v[44:45]
	ds_load_b128 v[44:47], v148 offset:4320
	ds_load_b128 v[48:51], v148 offset:5760
	v_add_f64_e32 v[11:12], v[53:54], v[57:58]
	s_wait_dscnt 0x1
	v_fma_f64 v[13:14], v[13:14], -0.5, v[46:47]
	v_add_f64_e32 v[46:47], v[46:47], v[55:56]
	s_delay_alu instid0(VALU_DEP_3) | instskip(SKIP_1) | instid1(VALU_DEP_3)
	v_fma_f64 v[11:12], v[11:12], -0.5, v[44:45]
	v_add_f64_e32 v[44:45], v[44:45], v[53:54]
	v_add_f64_e32 v[46:47], v[46:47], v[59:60]
	v_add_f64_e64 v[60:61], v[53:54], -v[57:58]
	s_delay_alu instid0(VALU_DEP_4) | instskip(NEXT) | instid1(VALU_DEP_4)
	v_fma_f64 v[54:55], v[70:71], s[14:15], v[11:12]
	v_add_f64_e32 v[44:45], v[44:45], v[57:58]
	v_fma_f64 v[58:59], v[70:71], s[12:13], v[11:12]
	v_add_f64_e32 v[11:12], v[62:63], v[66:67]
	ds_load_b128 v[70:73], v148 offset:7200
	ds_load_b128 v[74:77], v148 offset:8640
	;; [unrolled: 1-line block ×4, first 2 shown]
	global_wb scope:SCOPE_SE
	s_wait_storecnt_dscnt 0x0
	s_barrier_signal -1
	s_barrier_wait -1
	global_inv scope:SCOPE_SE
	ds_store_b128 v148, v[0:3]
	ds_store_b128 v148, v[20:23] offset:1440
	ds_store_b128 v148, v[24:27] offset:2880
	;; [unrolled: 1-line block ×8, first 2 shown]
	s_wait_alu 0xfffd
	v_cndmask_b32_e64 v0, 0, 0x384, vcc_lo
	s_delay_alu instid0(VALU_DEP_1) | instskip(SKIP_1) | instid1(VALU_DEP_1)
	v_add_lshl_u32 v174, v52, v0, 4
	v_mad_u16 v0, 0x384, v100, v140
	v_and_b32_e32 v0, 0xffff, v0
	s_delay_alu instid0(VALU_DEP_1) | instskip(SKIP_1) | instid1(VALU_DEP_1)
	v_lshlrev_b32_e32 v203, 4, v0
	v_and_b32_e32 v0, 0xffff, v141
	v_lshlrev_b32_e32 v202, 4, v0
	v_and_b32_e32 v0, 0xffff, v142
	v_fma_f64 v[56:57], v[60:61], s[12:13], v[13:14]
	v_fma_f64 v[60:61], v[60:61], s[14:15], v[13:14]
	v_add_f64_e32 v[13:14], v[64:65], v[68:69]
	s_delay_alu instid0(VALU_DEP_4) | instskip(SKIP_4) | instid1(VALU_DEP_1)
	v_lshlrev_b32_e32 v201, 4, v0
	v_fma_f64 v[11:12], v[11:12], -0.5, v[48:49]
	v_add_f64_e32 v[48:49], v[48:49], v[62:63]
	v_add_f64_e64 v[62:63], v[62:63], -v[66:67]
	v_and_b32_e32 v0, 0xffff, v143
	v_lshlrev_b32_e32 v179, 4, v0
	v_fma_f64 v[13:14], v[13:14], -0.5, v[50:51]
	v_add_f64_e32 v[50:51], v[50:51], v[64:65]
	v_add_f64_e64 v[64:65], v[64:65], -v[68:69]
	v_add_f64_e32 v[48:49], v[48:49], v[66:67]
	v_add_f64_e64 v[66:67], v[80:81], -v[84:85]
	v_fma_f64 v[107:108], v[62:63], s[12:13], v[13:14]
	v_fma_f64 v[115:116], v[62:63], s[14:15], v[13:14]
	;; [unrolled: 1-line block ×4, first 2 shown]
	v_add_f64_e32 v[11:12], v[78:79], v[82:83]
	v_add_f64_e32 v[13:14], v[80:81], v[84:85]
	;; [unrolled: 1-line block ×5, first 2 shown]
	v_fma_f64 v[11:12], v[11:12], -0.5, v[70:71]
	v_fma_f64 v[13:14], v[13:14], -0.5, v[72:73]
	v_add_f64_e32 v[72:73], v[62:63], v[84:85]
	v_add_f64_e32 v[70:71], v[64:65], v[82:83]
	v_add_f64_e64 v[62:63], v[78:79], -v[82:83]
	v_add_f64_e32 v[64:65], v[74:75], v[86:87]
	v_fma_f64 v[78:79], v[66:67], s[14:15], v[11:12]
	v_fma_f64 v[82:83], v[66:67], s[12:13], v[11:12]
	v_add_f64_e32 v[11:12], v[86:87], v[90:91]
	v_add_f64_e64 v[66:67], v[88:89], -v[92:93]
	v_fma_f64 v[80:81], v[62:63], s[12:13], v[13:14]
	v_fma_f64 v[84:85], v[62:63], s[14:15], v[13:14]
	v_add_f64_e32 v[13:14], v[88:89], v[92:93]
	v_add_f64_e32 v[62:63], v[76:77], v[88:89]
	ds_store_b128 v174, v[44:47]
	ds_store_b128 v174, v[54:57] offset:4800
	ds_store_b128 v174, v[58:61] offset:9600
	;; [unrolled: 1-line block ×8, first 2 shown]
	v_fma_f64 v[11:12], v[11:12], -0.5, v[74:75]
	v_add_f64_e32 v[74:75], v[64:65], v[90:91]
	v_add_f64_e32 v[64:65], v[128:129], v[94:95]
	v_fma_f64 v[13:14], v[13:14], -0.5, v[76:77]
	v_add_f64_e32 v[76:77], v[62:63], v[92:93]
	v_add_f64_e64 v[62:63], v[86:87], -v[90:91]
	v_fma_f64 v[86:87], v[66:67], s[14:15], v[11:12]
	v_fma_f64 v[90:91], v[66:67], s[12:13], v[11:12]
	v_add_f64_e32 v[11:12], v[94:95], v[98:99]
	v_add_f64_e64 v[66:67], v[96:97], -v[109:110]
	v_fma_f64 v[88:89], v[62:63], s[12:13], v[13:14]
	v_fma_f64 v[92:93], v[62:63], s[14:15], v[13:14]
	v_add_f64_e32 v[13:14], v[96:97], v[109:110]
	v_add_f64_e32 v[62:63], v[130:131], v[96:97]
	ds_store_b128 v203, v[74:77]
	ds_store_b128 v203, v[86:89] offset:4800
	ds_store_b128 v203, v[90:93] offset:9600
	v_fma_f64 v[11:12], v[11:12], -0.5, v[128:129]
	v_add_f64_e32 v[128:129], v[64:65], v[98:99]
	v_fma_f64 v[13:14], v[13:14], -0.5, v[130:131]
	v_add_f64_e32 v[130:131], v[62:63], v[109:110]
	v_add_f64_e64 v[62:63], v[94:95], -v[98:99]
	v_add_f64_e32 v[64:65], v[101:102], v[111:112]
	v_add_f64_e64 v[98:99], v[132:133], -v[136:137]
	v_fma_f64 v[94:95], v[66:67], s[14:15], v[11:12]
	v_fma_f64 v[66:67], v[66:67], s[12:13], v[11:12]
	v_add_f64_e32 v[11:12], v[111:112], v[17:18]
	v_fma_f64 v[96:97], v[62:63], s[12:13], v[13:14]
	v_fma_f64 v[68:69], v[62:63], s[14:15], v[13:14]
	v_add_f64_e32 v[13:14], v[15:16], v[125:126]
	v_add_f64_e32 v[62:63], v[103:104], v[15:16]
	v_add_f64_e64 v[15:16], v[15:16], -v[125:126]
	ds_store_b128 v202, v[128:131] offset:28800
	ds_store_b128 v202, v[94:97] offset:33600
	;; [unrolled: 1-line block ×3, first 2 shown]
	v_fma_f64 v[11:12], v[11:12], -0.5, v[101:102]
	v_add_f64_e32 v[101:102], v[64:65], v[17:18]
	v_fma_f64 v[13:14], v[13:14], -0.5, v[103:104]
	v_add_f64_e32 v[103:104], v[62:63], v[125:126]
	v_add_f64_e64 v[17:18], v[111:112], -v[17:18]
	v_fma_f64 v[62:63], v[15:16], s[14:15], v[11:12]
	v_fma_f64 v[109:110], v[15:16], s[12:13], v[11:12]
	v_add_f64_e32 v[11:12], v[132:133], v[136:137]
	v_add_f64_e64 v[15:16], v[134:135], -v[138:139]
	v_fma_f64 v[64:65], v[17:18], s[12:13], v[13:14]
	v_fma_f64 v[111:112], v[17:18], s[14:15], v[13:14]
	ds_store_b128 v201, v[101:104] offset:28800
	ds_store_b128 v201, v[62:65] offset:33600
	;; [unrolled: 1-line block ×3, first 2 shown]
	v_fma_f64 v[13:14], v[11:12], -0.5, v[7:8]
	v_add_f64_e32 v[11:12], v[134:135], v[138:139]
	v_add_f64_e32 v[7:8], v[7:8], v[132:133]
	s_delay_alu instid0(VALU_DEP_2) | instskip(SKIP_1) | instid1(VALU_DEP_3)
	v_fma_f64 v[17:18], v[11:12], -0.5, v[9:10]
	v_add_f64_e32 v[9:10], v[9:10], v[134:135]
	v_add_f64_e32 v[7:8], v[7:8], v[136:137]
	v_fma_f64 v[11:12], v[15:16], s[14:15], v[13:14]
	v_fma_f64 v[15:16], v[15:16], s[12:13], v[13:14]
	;; [unrolled: 1-line block ×3, first 2 shown]
	v_add_f64_e32 v[9:10], v[9:10], v[138:139]
	v_fma_f64 v[17:18], v[98:99], s[14:15], v[17:18]
	ds_store_b128 v179, v[7:10] offset:28800
	ds_store_b128 v179, v[11:14] offset:33600
	;; [unrolled: 1-line block ×3, first 2 shown]
	global_wb scope:SCOPE_SE
	s_wait_dscnt 0x0
	s_barrier_signal -1
	s_barrier_wait -1
	global_inv scope:SCOPE_SE
	s_clause 0x1
	global_load_b128 v[175:178], v4, s[10:11] offset:14352
	global_load_b128 v[15:18], v4, s[10:11] offset:14368
	ds_load_b128 v[0:3], v148 offset:14400
	ds_load_b128 v[7:10], v148 offset:12960
	s_wait_loadcnt_dscnt 0x101
	v_mul_f64_e32 v[11:12], v[2:3], v[177:178]
	s_wait_loadcnt 0x0
	v_mov_b32_e32 v20, v18
	v_dual_mov_b32 v19, v17 :: v_dual_mov_b32 v18, v16
	v_mov_b32_e32 v17, v15
	s_delay_alu instid0(VALU_DEP_4) | instskip(SKIP_1) | instid1(VALU_DEP_1)
	v_fma_f64 v[23:24], v[0:1], v[175:176], -v[11:12]
	v_mul_f64_e32 v[0:1], v[0:1], v[177:178]
	v_fma_f64 v[25:26], v[2:3], v[175:176], v[0:1]
	ds_load_b128 v[0:3], v148 offset:28800
	ds_load_b128 v[11:14], v148 offset:27360
	s_clause 0x1
	global_load_b128 v[33:36], v6, s[10:11] offset:14352
	global_load_b128 v[39:42], v6, s[10:11] offset:14368
	scratch_store_b128 off, v[17:20], off offset:504 ; 16-byte Folded Spill
	s_wait_dscnt 0x1
	v_mul_f64_e32 v[15:16], v[2:3], v[19:20]
	s_delay_alu instid0(VALU_DEP_1) | instskip(SKIP_1) | instid1(VALU_DEP_1)
	v_fma_f64 v[27:28], v[0:1], v[17:18], -v[15:16]
	v_mul_f64_e32 v[0:1], v[0:1], v[19:20]
	v_fma_f64 v[29:30], v[2:3], v[17:18], v[0:1]
	s_wait_loadcnt 0x1
	scratch_store_b128 off, v[33:36], off offset:536 ; 16-byte Folded Spill
	s_wait_loadcnt 0x0
	scratch_store_b128 off, v[39:42], off offset:520 ; 16-byte Folded Spill
	ds_load_b128 v[0:3], v148 offset:15840
	ds_load_b128 v[15:18], v148 offset:17280
	s_wait_dscnt 0x1
	v_mul_f64_e32 v[19:20], v[2:3], v[35:36]
	s_delay_alu instid0(VALU_DEP_1) | instskip(SKIP_1) | instid1(VALU_DEP_1)
	v_fma_f64 v[31:32], v[0:1], v[33:34], -v[19:20]
	v_mul_f64_e32 v[0:1], v[0:1], v[35:36]
	v_fma_f64 v[33:34], v[2:3], v[33:34], v[0:1]
	ds_load_b128 v[0:3], v148 offset:30240
	ds_load_b128 v[19:22], v148 offset:31680
	global_load_b128 v[45:48], v5, s[10:11] offset:14352
	s_wait_dscnt 0x1
	v_mul_f64_e32 v[35:36], v[2:3], v[41:42]
	s_delay_alu instid0(VALU_DEP_1)
	v_fma_f64 v[35:36], v[0:1], v[39:40], -v[35:36]
	v_mul_f64_e32 v[0:1], v[0:1], v[41:42]
	global_load_b128 v[41:44], v5, s[10:11] offset:14368
	v_fma_f64 v[37:38], v[2:3], v[39:40], v[0:1]
	s_wait_loadcnt 0x1
	v_mul_f64_e32 v[0:1], v[17:18], v[47:48]
	s_delay_alu instid0(VALU_DEP_1) | instskip(SKIP_1) | instid1(VALU_DEP_1)
	v_fma_f64 v[4:5], v[15:16], v[45:46], -v[0:1]
	v_mul_f64_e32 v[0:1], v[15:16], v[47:48]
	v_fma_f64 v[39:40], v[17:18], v[45:46], v[0:1]
	s_wait_loadcnt 0x0
	v_mov_b32_e32 v15, v41
	v_dual_mov_b32 v17, v43 :: v_dual_mov_b32 v18, v44
	v_mov_b32_e32 v16, v42
	s_wait_dscnt 0x0
	s_delay_alu instid0(VALU_DEP_2) | instskip(SKIP_3) | instid1(VALU_DEP_1)
	v_mul_f64_e32 v[0:1], v[21:22], v[17:18]
	scratch_store_b128 off, v[15:18], off offset:568 ; 16-byte Folded Spill
	v_fma_f64 v[41:42], v[19:20], v[15:16], -v[0:1]
	v_mul_f64_e32 v[0:1], v[19:20], v[17:18]
	v_fma_f64 v[43:44], v[21:22], v[15:16], v[0:1]
	v_lshlrev_b32_e32 v0, 5, v144
	global_load_b128 v[53:56], v0, s[10:11] offset:14352
	scratch_store_b128 off, v[45:48], off offset:552 ; 16-byte Folded Spill
	global_load_b128 v[47:50], v0, s[10:11] offset:14368
	s_wait_loadcnt 0x1
	scratch_store_b128 off, v[53:56], off offset:600 ; 16-byte Folded Spill
	s_wait_loadcnt 0x0
	scratch_store_b128 off, v[47:50], off offset:584 ; 16-byte Folded Spill
	ds_load_b128 v[0:3], v148 offset:18720
	ds_load_b128 v[15:18], v148 offset:20160
	s_wait_dscnt 0x1
	v_mul_f64_e32 v[19:20], v[2:3], v[55:56]
	s_delay_alu instid0(VALU_DEP_1) | instskip(SKIP_1) | instid1(VALU_DEP_1)
	v_fma_f64 v[51:52], v[0:1], v[53:54], -v[19:20]
	v_mul_f64_e32 v[0:1], v[0:1], v[55:56]
	v_fma_f64 v[53:54], v[2:3], v[53:54], v[0:1]
	ds_load_b128 v[0:3], v148 offset:33120
	ds_load_b128 v[19:22], v148 offset:34560
	s_wait_dscnt 0x1
	v_mul_f64_e32 v[45:46], v[2:3], v[49:50]
	s_delay_alu instid0(VALU_DEP_1) | instskip(SKIP_1) | instid1(VALU_DEP_1)
	v_fma_f64 v[55:56], v[0:1], v[47:48], -v[45:46]
	v_mul_f64_e32 v[0:1], v[0:1], v[49:50]
	v_fma_f64 v[57:58], v[2:3], v[47:48], v[0:1]
	scratch_load_b32 v0, off, off offset:616 th:TH_LOAD_LU ; 4-byte Folded Reload
	s_wait_loadcnt 0x0
	v_lshlrev_b32_e32 v0, 5, v0
	s_clause 0x1
	global_load_b128 v[61:64], v0, s[10:11] offset:14352
	global_load_b128 v[45:48], v0, s[10:11] offset:14368
	s_wait_loadcnt 0x1
	v_mul_f64_e32 v[0:1], v[17:18], v[63:64]
	scratch_store_b128 off, v[61:64], off offset:616 ; 16-byte Folded Spill
	s_wait_loadcnt 0x0
	scratch_store_b128 off, v[45:48], off offset:632 ; 16-byte Folded Spill
	v_fma_f64 v[59:60], v[15:16], v[61:62], -v[0:1]
	v_mul_f64_e32 v[0:1], v[15:16], v[63:64]
	s_delay_alu instid0(VALU_DEP_1) | instskip(SKIP_2) | instid1(VALU_DEP_1)
	v_fma_f64 v[61:62], v[17:18], v[61:62], v[0:1]
	s_wait_dscnt 0x0
	v_mul_f64_e32 v[0:1], v[21:22], v[47:48]
	v_fma_f64 v[63:64], v[19:20], v[45:46], -v[0:1]
	v_mul_f64_e32 v[0:1], v[19:20], v[47:48]
	s_delay_alu instid0(VALU_DEP_1)
	v_fma_f64 v[65:66], v[21:22], v[45:46], v[0:1]
	scratch_load_b32 v0, off, off offset:648 th:TH_LOAD_LU ; 4-byte Folded Reload
	s_wait_loadcnt 0x0
	v_lshlrev_b32_e32 v0, 5, v0
	s_clause 0x1
	global_load_b128 v[67:70], v0, s[10:11] offset:14352
	global_load_b128 v[47:50], v0, s[10:11] offset:14368
	s_wait_loadcnt 0x1
	scratch_store_b128 off, v[67:70], off offset:664 ; 16-byte Folded Spill
	s_wait_loadcnt 0x0
	scratch_store_b128 off, v[47:50], off offset:648 ; 16-byte Folded Spill
	ds_load_b128 v[0:3], v148 offset:21600
	ds_load_b128 v[15:18], v148 offset:23040
	s_wait_dscnt 0x1
	v_mul_f64_e32 v[19:20], v[2:3], v[69:70]
	s_delay_alu instid0(VALU_DEP_1) | instskip(SKIP_1) | instid1(VALU_DEP_1)
	v_fma_f64 v[75:76], v[0:1], v[67:68], -v[19:20]
	v_mul_f64_e32 v[0:1], v[0:1], v[69:70]
	v_fma_f64 v[77:78], v[2:3], v[67:68], v[0:1]
	ds_load_b128 v[0:3], v148 offset:36000
	ds_load_b128 v[19:22], v148 offset:37440
	s_wait_dscnt 0x1
	v_mul_f64_e32 v[45:46], v[2:3], v[49:50]
	s_delay_alu instid0(VALU_DEP_1) | instskip(SKIP_1) | instid1(VALU_DEP_1)
	v_fma_f64 v[79:80], v[0:1], v[47:48], -v[45:46]
	v_mul_f64_e32 v[0:1], v[0:1], v[49:50]
	v_fma_f64 v[81:82], v[2:3], v[47:48], v[0:1]
	v_lshlrev_b32_e32 v0, 5, v151
	s_clause 0x1
	global_load_b128 v[67:70], v0, s[10:11] offset:14352
	global_load_b128 v[45:48], v0, s[10:11] offset:14368
	v_add_f64_e32 v[91:92], v[77:78], v[81:82]
	s_wait_loadcnt 0x1
	v_mul_f64_e32 v[0:1], v[17:18], v[69:70]
	scratch_store_b128 off, v[67:70], off offset:680 ; 16-byte Folded Spill
	s_wait_loadcnt 0x0
	scratch_store_b128 off, v[45:48], off offset:696 ; 16-byte Folded Spill
	v_fma_f64 v[83:84], v[15:16], v[67:68], -v[0:1]
	v_mul_f64_e32 v[0:1], v[15:16], v[69:70]
	s_delay_alu instid0(VALU_DEP_1) | instskip(SKIP_2) | instid1(VALU_DEP_1)
	v_fma_f64 v[85:86], v[17:18], v[67:68], v[0:1]
	s_wait_dscnt 0x0
	v_mul_f64_e32 v[0:1], v[21:22], v[47:48]
	v_fma_f64 v[87:88], v[19:20], v[45:46], -v[0:1]
	v_mul_f64_e32 v[0:1], v[19:20], v[47:48]
	s_delay_alu instid0(VALU_DEP_1)
	v_fma_f64 v[89:90], v[21:22], v[45:46], v[0:1]
	v_lshlrev_b32_e32 v0, 5, v150
	s_clause 0x1
	global_load_b128 v[67:70], v0, s[10:11] offset:14352
	global_load_b128 v[47:50], v0, s[10:11] offset:14368
	s_wait_loadcnt 0x1
	scratch_store_b128 off, v[67:70], off offset:728 ; 16-byte Folded Spill
	s_wait_loadcnt 0x0
	scratch_store_b128 off, v[47:50], off offset:712 ; 16-byte Folded Spill
	ds_load_b128 v[0:3], v148 offset:24480
	ds_load_b128 v[15:18], v148 offset:25920
	s_wait_dscnt 0x1
	v_mul_f64_e32 v[19:20], v[2:3], v[69:70]
	s_delay_alu instid0(VALU_DEP_1) | instskip(SKIP_1) | instid1(VALU_DEP_1)
	v_fma_f64 v[95:96], v[0:1], v[67:68], -v[19:20]
	v_mul_f64_e32 v[0:1], v[0:1], v[69:70]
	v_fma_f64 v[97:98], v[2:3], v[67:68], v[0:1]
	ds_load_b128 v[0:3], v148 offset:38880
	ds_load_b128 v[19:22], v148 offset:40320
	s_wait_dscnt 0x1
	v_mul_f64_e32 v[45:46], v[2:3], v[49:50]
	s_delay_alu instid0(VALU_DEP_1) | instskip(SKIP_1) | instid1(VALU_DEP_1)
	v_fma_f64 v[104:105], v[0:1], v[47:48], -v[45:46]
	v_mul_f64_e32 v[0:1], v[0:1], v[49:50]
	v_fma_f64 v[106:107], v[2:3], v[47:48], v[0:1]
	v_lshlrev_b32_e32 v0, 5, v149
	s_clause 0x1
	global_load_b128 v[67:70], v0, s[10:11] offset:14352
	global_load_b128 v[45:48], v0, s[10:11] offset:14368
	v_add_f64_e32 v[108:109], v[97:98], v[106:107]
	s_wait_loadcnt 0x1
	v_mul_f64_e32 v[0:1], v[17:18], v[69:70]
	scratch_store_b128 off, v[67:70], off offset:744 ; 16-byte Folded Spill
	s_wait_loadcnt 0x0
	scratch_store_b128 off, v[45:48], off offset:760 ; 16-byte Folded Spill
	v_fma_f64 v[112:113], v[15:16], v[67:68], -v[0:1]
	v_mul_f64_e32 v[0:1], v[15:16], v[69:70]
	s_delay_alu instid0(VALU_DEP_1) | instskip(SKIP_3) | instid1(VALU_DEP_2)
	v_fma_f64 v[114:115], v[17:18], v[67:68], v[0:1]
	s_wait_dscnt 0x0
	v_mul_f64_e32 v[0:1], v[21:22], v[47:48]
	v_add_f64_e32 v[67:68], v[53:54], v[57:58]
	v_fma_f64 v[116:117], v[19:20], v[45:46], -v[0:1]
	v_mul_f64_e32 v[0:1], v[19:20], v[47:48]
	s_delay_alu instid0(VALU_DEP_1)
	v_fma_f64 v[118:119], v[21:22], v[45:46], v[0:1]
	v_lshlrev_b32_e32 v0, 5, v145
	s_clause 0x1
	global_load_b128 v[45:48], v0, s[10:11] offset:14352
	global_load_b128 v[17:20], v0, s[10:11] offset:14368
	s_add_nc_u64 s[10:11], s[8:9], 0xa8c0
	s_wait_loadcnt 0x1
	v_mul_f64_e32 v[0:1], v[13:14], v[47:48]
	scratch_store_b128 off, v[45:48], off offset:792 ; 16-byte Folded Spill
	s_wait_loadcnt 0x0
	scratch_store_b128 off, v[17:20], off offset:776 ; 16-byte Folded Spill
	v_fma_f64 v[120:121], v[11:12], v[45:46], -v[0:1]
	v_mul_f64_e32 v[0:1], v[11:12], v[47:48]
	s_delay_alu instid0(VALU_DEP_1) | instskip(SKIP_4) | instid1(VALU_DEP_1)
	v_fma_f64 v[122:123], v[13:14], v[45:46], v[0:1]
	ds_load_b128 v[0:3], v148 offset:41760
	ds_load_b128 v[11:14], v148
	s_wait_dscnt 0x1
	v_mul_f64_e32 v[15:16], v[2:3], v[19:20]
	v_fma_f64 v[124:125], v[0:1], v[17:18], -v[15:16]
	v_mul_f64_e32 v[0:1], v[0:1], v[19:20]
	v_add_f64_e64 v[19:20], v[23:24], -v[27:28]
	s_delay_alu instid0(VALU_DEP_2) | instskip(SKIP_2) | instid1(VALU_DEP_1)
	v_fma_f64 v[126:127], v[2:3], v[17:18], v[0:1]
	v_add_f64_e32 v[0:1], v[23:24], v[27:28]
	s_wait_dscnt 0x0
	v_fma_f64 v[15:16], v[0:1], -0.5, v[11:12]
	v_add_f64_e32 v[0:1], v[25:26], v[29:30]
	v_add_f64_e32 v[11:12], v[11:12], v[23:24]
	s_delay_alu instid0(VALU_DEP_2) | instskip(SKIP_2) | instid1(VALU_DEP_2)
	v_fma_f64 v[17:18], v[0:1], -0.5, v[13:14]
	v_add_f64_e32 v[0:1], v[13:14], v[25:26]
	v_add_f64_e64 v[13:14], v[25:26], -v[29:30]
	v_add_f64_e32 v[2:3], v[0:1], v[29:30]
	v_add_f64_e32 v[0:1], v[11:12], v[27:28]
	;; [unrolled: 1-line block ×3, first 2 shown]
	s_delay_alu instid0(VALU_DEP_4)
	v_fma_f64 v[11:12], v[13:14], s[14:15], v[15:16]
	v_fma_f64 v[15:16], v[13:14], s[12:13], v[15:16]
	;; [unrolled: 1-line block ×4, first 2 shown]
	ds_load_b128 v[19:22], v148 offset:1440
	ds_load_b128 v[23:26], v148 offset:2880
	s_wait_dscnt 0x1
	v_fma_f64 v[29:30], v[27:28], -0.5, v[19:20]
	v_add_f64_e32 v[27:28], v[33:34], v[37:38]
	v_add_f64_e32 v[19:20], v[19:20], v[31:32]
	s_delay_alu instid0(VALU_DEP_2) | instskip(SKIP_2) | instid1(VALU_DEP_4)
	v_fma_f64 v[45:46], v[27:28], -0.5, v[21:22]
	v_add_f64_e32 v[21:22], v[21:22], v[33:34]
	v_add_f64_e64 v[33:34], v[33:34], -v[37:38]
	v_add_f64_e32 v[19:20], v[19:20], v[35:36]
	v_add_f64_e64 v[35:36], v[31:32], -v[35:36]
	s_delay_alu instid0(VALU_DEP_4) | instskip(NEXT) | instid1(VALU_DEP_4)
	v_add_f64_e32 v[21:22], v[21:22], v[37:38]
	v_fma_f64 v[27:28], v[33:34], s[14:15], v[29:30]
	v_fma_f64 v[31:32], v[33:34], s[12:13], v[29:30]
	s_delay_alu instid0(VALU_DEP_4) | instskip(SKIP_3) | instid1(VALU_DEP_1)
	v_fma_f64 v[29:30], v[35:36], s[12:13], v[45:46]
	v_fma_f64 v[33:34], v[35:36], s[14:15], v[45:46]
	v_add_f64_e32 v[35:36], v[4:5], v[41:42]
	s_wait_dscnt 0x0
	v_fma_f64 v[37:38], v[35:36], -0.5, v[23:24]
	v_add_f64_e32 v[35:36], v[39:40], v[43:44]
	v_add_f64_e32 v[23:24], v[23:24], v[4:5]
	v_add_f64_e64 v[4:5], v[4:5], -v[41:42]
	s_delay_alu instid0(VALU_DEP_3) | instskip(SKIP_3) | instid1(VALU_DEP_4)
	v_fma_f64 v[45:46], v[35:36], -0.5, v[25:26]
	v_add_f64_e32 v[25:26], v[25:26], v[39:40]
	v_add_f64_e64 v[39:40], v[39:40], -v[43:44]
	v_add_f64_e32 v[23:24], v[23:24], v[41:42]
	v_fma_f64 v[41:42], v[4:5], s[14:15], v[45:46]
	s_delay_alu instid0(VALU_DEP_4) | instskip(NEXT) | instid1(VALU_DEP_4)
	v_add_f64_e32 v[25:26], v[25:26], v[43:44]
	v_fma_f64 v[35:36], v[39:40], s[14:15], v[37:38]
	v_fma_f64 v[39:40], v[39:40], s[12:13], v[37:38]
	;; [unrolled: 1-line block ×3, first 2 shown]
	ds_load_b128 v[43:46], v148 offset:4320
	ds_load_b128 v[47:50], v148 offset:5760
	v_add_f64_e32 v[4:5], v[51:52], v[55:56]
	s_wait_dscnt 0x1
	v_fma_f64 v[67:68], v[67:68], -0.5, v[45:46]
	v_add_f64_e32 v[45:46], v[45:46], v[53:54]
	v_add_f64_e64 v[53:54], v[53:54], -v[57:58]
	s_delay_alu instid0(VALU_DEP_4) | instskip(SKIP_1) | instid1(VALU_DEP_4)
	v_fma_f64 v[4:5], v[4:5], -0.5, v[43:44]
	v_add_f64_e32 v[43:44], v[43:44], v[51:52]
	v_add_f64_e32 v[45:46], v[45:46], v[57:58]
	v_add_f64_e64 v[57:58], v[51:52], -v[55:56]
	s_delay_alu instid0(VALU_DEP_4) | instskip(NEXT) | instid1(VALU_DEP_4)
	v_fma_f64 v[51:52], v[53:54], s[14:15], v[4:5]
	v_add_f64_e32 v[43:44], v[43:44], v[55:56]
	v_fma_f64 v[55:56], v[53:54], s[12:13], v[4:5]
	v_add_f64_e32 v[4:5], v[59:60], v[63:64]
	v_fma_f64 v[53:54], v[57:58], s[12:13], v[67:68]
	v_fma_f64 v[57:58], v[57:58], s[14:15], v[67:68]
	v_add_f64_e32 v[67:68], v[61:62], v[65:66]
	s_wait_dscnt 0x0
	s_delay_alu instid0(VALU_DEP_4) | instskip(SKIP_1) | instid1(VALU_DEP_3)
	v_fma_f64 v[4:5], v[4:5], -0.5, v[47:48]
	v_add_f64_e32 v[47:48], v[47:48], v[59:60]
	v_fma_f64 v[67:68], v[67:68], -0.5, v[49:50]
	v_add_f64_e32 v[49:50], v[49:50], v[61:62]
	v_add_f64_e64 v[61:62], v[61:62], -v[65:66]
	s_delay_alu instid0(VALU_DEP_4) | instskip(NEXT) | instid1(VALU_DEP_3)
	v_add_f64_e32 v[47:48], v[47:48], v[63:64]
	v_add_f64_e32 v[49:50], v[49:50], v[65:66]
	v_add_f64_e64 v[65:66], v[59:60], -v[63:64]
	s_delay_alu instid0(VALU_DEP_4) | instskip(SKIP_2) | instid1(VALU_DEP_4)
	v_fma_f64 v[59:60], v[61:62], s[14:15], v[4:5]
	v_fma_f64 v[63:64], v[61:62], s[12:13], v[4:5]
	v_add_f64_e32 v[4:5], v[75:76], v[79:80]
	v_fma_f64 v[61:62], v[65:66], s[12:13], v[67:68]
	v_fma_f64 v[65:66], v[65:66], s[14:15], v[67:68]
	ds_load_b128 v[67:70], v148 offset:7200
	ds_load_b128 v[71:74], v148 offset:8640
	s_wait_dscnt 0x1
	v_fma_f64 v[91:92], v[91:92], -0.5, v[69:70]
	v_add_f64_e32 v[69:70], v[69:70], v[77:78]
	v_fma_f64 v[4:5], v[4:5], -0.5, v[67:68]
	v_add_f64_e32 v[67:68], v[67:68], v[75:76]
	v_add_f64_e64 v[77:78], v[77:78], -v[81:82]
	s_delay_alu instid0(VALU_DEP_4) | instskip(SKIP_1) | instid1(VALU_DEP_4)
	v_add_f64_e32 v[69:70], v[69:70], v[81:82]
	v_add_f64_e64 v[81:82], v[75:76], -v[79:80]
	v_add_f64_e32 v[67:68], v[67:68], v[79:80]
	s_delay_alu instid0(VALU_DEP_4)
	v_fma_f64 v[75:76], v[77:78], s[14:15], v[4:5]
	v_fma_f64 v[79:80], v[77:78], s[12:13], v[4:5]
	v_add_f64_e32 v[4:5], v[83:84], v[87:88]
	v_fma_f64 v[77:78], v[81:82], s[12:13], v[91:92]
	v_fma_f64 v[81:82], v[81:82], s[14:15], v[91:92]
	v_add_f64_e32 v[91:92], v[85:86], v[89:90]
	s_wait_dscnt 0x0
	s_delay_alu instid0(VALU_DEP_4) | instskip(SKIP_1) | instid1(VALU_DEP_3)
	v_fma_f64 v[4:5], v[4:5], -0.5, v[71:72]
	v_add_f64_e32 v[71:72], v[71:72], v[83:84]
	v_fma_f64 v[91:92], v[91:92], -0.5, v[73:74]
	v_add_f64_e32 v[73:74], v[73:74], v[85:86]
	v_add_f64_e64 v[85:86], v[85:86], -v[89:90]
	s_delay_alu instid0(VALU_DEP_4) | instskip(NEXT) | instid1(VALU_DEP_3)
	v_add_f64_e32 v[71:72], v[71:72], v[87:88]
	v_add_f64_e32 v[73:74], v[73:74], v[89:90]
	v_add_f64_e64 v[89:90], v[83:84], -v[87:88]
	s_delay_alu instid0(VALU_DEP_4) | instskip(SKIP_2) | instid1(VALU_DEP_4)
	v_fma_f64 v[83:84], v[85:86], s[14:15], v[4:5]
	v_fma_f64 v[87:88], v[85:86], s[12:13], v[4:5]
	v_add_f64_e32 v[4:5], v[95:96], v[104:105]
	v_fma_f64 v[85:86], v[89:90], s[12:13], v[91:92]
	v_fma_f64 v[89:90], v[89:90], s[14:15], v[91:92]
	ds_load_b128 v[91:94], v148 offset:10080
	ds_load_b128 v[100:103], v148 offset:11520
	s_wait_dscnt 0x1
	v_fma_f64 v[4:5], v[4:5], -0.5, v[91:92]
	v_fma_f64 v[110:111], v[108:109], -0.5, v[93:94]
	v_add_f64_e32 v[93:94], v[93:94], v[97:98]
	v_add_f64_e32 v[91:92], v[91:92], v[95:96]
	v_add_f64_e64 v[97:98], v[97:98], -v[106:107]
	v_add_f64_e64 v[95:96], v[95:96], -v[104:105]
	s_delay_alu instid0(VALU_DEP_4) | instskip(NEXT) | instid1(VALU_DEP_4)
	v_add_f64_e32 v[93:94], v[93:94], v[106:107]
	v_add_f64_e32 v[91:92], v[91:92], v[104:105]
	s_delay_alu instid0(VALU_DEP_4)
	v_fma_f64 v[104:105], v[97:98], s[14:15], v[4:5]
	v_fma_f64 v[108:109], v[97:98], s[12:13], v[4:5]
	v_add_f64_e32 v[4:5], v[112:113], v[116:117]
	v_fma_f64 v[106:107], v[95:96], s[12:13], v[110:111]
	v_fma_f64 v[110:111], v[95:96], s[14:15], v[110:111]
	v_add_f64_e32 v[95:96], v[114:115], v[118:119]
	s_wait_dscnt 0x0
	v_add_f64_e32 v[97:98], v[102:103], v[114:115]
	v_add_f64_e64 v[114:115], v[114:115], -v[118:119]
	v_fma_f64 v[4:5], v[4:5], -0.5, v[100:101]
	v_add_f64_e32 v[99:100], v[100:101], v[112:113]
	v_fma_f64 v[95:96], v[95:96], -0.5, v[102:103]
	v_add_f64_e32 v[102:103], v[97:98], v[118:119]
	v_add_f64_e64 v[97:98], v[112:113], -v[116:117]
	v_fma_f64 v[112:113], v[114:115], s[14:15], v[4:5]
	v_add_f64_e32 v[100:101], v[99:100], v[116:117]
	v_fma_f64 v[116:117], v[114:115], s[12:13], v[4:5]
	v_add_f64_e32 v[4:5], v[120:121], v[124:125]
	v_fma_f64 v[114:115], v[97:98], s[12:13], v[95:96]
	v_fma_f64 v[118:119], v[97:98], s[14:15], v[95:96]
	s_delay_alu instid0(VALU_DEP_3) | instskip(SKIP_1) | instid1(VALU_DEP_1)
	v_fma_f64 v[95:96], v[4:5], -0.5, v[7:8]
	v_add_f64_e32 v[4:5], v[122:123], v[126:127]
	v_fma_f64 v[97:98], v[4:5], -0.5, v[9:10]
	v_add_f64_e32 v[4:5], v[9:10], v[122:123]
	v_add_f64_e32 v[8:9], v[7:8], v[120:121]
	v_add_f64_e64 v[122:123], v[122:123], -v[126:127]
	s_delay_alu instid0(VALU_DEP_3) | instskip(NEXT) | instid1(VALU_DEP_3)
	v_add_f64_e32 v[6:7], v[4:5], v[126:127]
	v_add_f64_e32 v[4:5], v[8:9], v[124:125]
	v_add_f64_e64 v[8:9], v[120:121], -v[124:125]
	s_delay_alu instid0(VALU_DEP_4) | instskip(SKIP_1) | instid1(VALU_DEP_3)
	v_fma_f64 v[120:121], v[122:123], s[14:15], v[95:96]
	v_fma_f64 v[126:127], v[122:123], s[12:13], v[95:96]
	;; [unrolled: 1-line block ×4, first 2 shown]
	ds_store_b128 v148, v[0:3]
	ds_store_b128 v148, v[19:22] offset:1440
	ds_store_b128 v148, v[23:26] offset:2880
	;; [unrolled: 1-line block ×29, first 2 shown]
	global_wb scope:SCOPE_SE
	s_wait_storecnt_dscnt 0x0
	s_barrier_signal -1
	s_barrier_wait -1
	global_inv scope:SCOPE_SE
	s_clause 0x5
	global_load_b128 v[0:3], v148, s[8:9] offset:43200
	global_load_b128 v[48:51], v148, s[10:11] offset:1440
	global_load_b128 v[16:19], v148, s[10:11] offset:14400
	global_load_b128 v[64:67], v148, s[10:11] offset:15840
	global_load_b128 v[130:133], v148, s[10:11] offset:41760
	global_load_b128 v[32:35], v148, s[10:11] offset:28800
	ds_load_b128 v[4:7], v148
	ds_load_b128 v[96:99], v148 offset:41760
	ds_load_b128 v[20:23], v148 offset:14400
	;; [unrolled: 1-line block ×3, first 2 shown]
	s_clause 0x1
	global_load_b128 v[24:27], v148, s[10:11] offset:12960
	global_load_b128 v[56:59], v148, s[10:11] offset:2880
	ds_load_b128 v[36:39], v148 offset:28800
	ds_load_b128 v[44:47], v148 offset:27360
	s_clause 0x1
	global_load_b128 v[40:43], v148, s[10:11] offset:27360
	global_load_b128 v[72:75], v148, s[10:11] offset:17280
	ds_load_b128 v[52:55], v148 offset:1440
	ds_load_b128 v[60:63], v148 offset:2880
	;; [unrolled: 1-line block ×4, first 2 shown]
	s_clause 0x1
	global_load_b128 v[80:83], v148, s[10:11] offset:30240
	global_load_b128 v[84:87], v148, s[10:11] offset:31680
	ds_load_b128 v[88:91], v148 offset:30240
	ds_load_b128 v[92:95], v148 offset:31680
	;; [unrolled: 1-line block ×4, first 2 shown]
	global_load_b128 v[104:107], v148, s[10:11] offset:20160
	s_wait_loadcnt_dscnt 0xc0d
	v_mul_f64_e32 v[8:9], v[6:7], v[2:3]
	v_mul_f64_e32 v[2:3], v[4:5], v[2:3]
	s_delay_alu instid0(VALU_DEP_2) | instskip(NEXT) | instid1(VALU_DEP_2)
	v_fma_f64 v[149:150], v[4:5], v[0:1], -v[8:9]
	v_fma_f64 v[151:152], v[6:7], v[0:1], v[2:3]
	s_wait_loadcnt_dscnt 0xa0b
	v_mul_f64_e32 v[0:1], v[22:23], v[18:19]
	v_mul_f64_e32 v[2:3], v[20:21], v[18:19]
	s_delay_alu instid0(VALU_DEP_2) | instskip(NEXT) | instid1(VALU_DEP_2)
	v_fma_f64 v[142:143], v[20:21], v[16:17], -v[0:1]
	v_fma_f64 v[144:145], v[22:23], v[16:17], v[2:3]
	;; [unrolled: 6-line block ×3, first 2 shown]
	s_wait_dscnt 0x7
	v_mul_f64_e32 v[0:1], v[54:55], v[50:51]
	v_mul_f64_e32 v[2:3], v[52:53], v[50:51]
	s_delay_alu instid0(VALU_DEP_2) | instskip(NEXT) | instid1(VALU_DEP_2)
	v_fma_f64 v[134:135], v[52:53], v[48:49], -v[0:1]
	v_fma_f64 v[136:137], v[54:55], v[48:49], v[2:3]
	s_wait_dscnt 0x5
	v_mul_f64_e32 v[0:1], v[70:71], v[66:67]
	v_mul_f64_e32 v[2:3], v[68:69], v[66:67]
	s_delay_alu instid0(VALU_DEP_2) | instskip(NEXT) | instid1(VALU_DEP_2)
	v_fma_f64 v[66:67], v[68:69], v[64:65], -v[0:1]
	v_fma_f64 v[68:69], v[70:71], v[64:65], v[2:3]
	s_wait_loadcnt_dscnt 0x203
	v_mul_f64_e32 v[0:1], v[90:91], v[82:83]
	v_mul_f64_e32 v[2:3], v[88:89], v[82:83]
	s_delay_alu instid0(VALU_DEP_2) | instskip(NEXT) | instid1(VALU_DEP_2)
	v_fma_f64 v[88:89], v[88:89], v[80:81], -v[0:1]
	v_fma_f64 v[90:91], v[90:91], v[80:81], v[2:3]
	v_mul_f64_e32 v[0:1], v[62:63], v[58:59]
	v_mul_f64_e32 v[2:3], v[60:61], v[58:59]
	s_delay_alu instid0(VALU_DEP_2) | instskip(NEXT) | instid1(VALU_DEP_2)
	v_fma_f64 v[54:55], v[60:61], v[56:57], -v[0:1]
	v_fma_f64 v[56:57], v[62:63], v[56:57], v[2:3]
	;; [unrolled: 5-line block ×3, first 2 shown]
	s_wait_loadcnt_dscnt 0x102
	v_mul_f64_e32 v[0:1], v[94:95], v[86:87]
	v_mul_f64_e32 v[2:3], v[92:93], v[86:87]
	s_clause 0x1
	global_load_b128 v[70:73], v148, s[10:11] offset:4320
	global_load_b128 v[78:81], v148, s[10:11] offset:5760
	ds_load_b128 v[74:77], v148 offset:4320
	v_fma_f64 v[62:63], v[92:93], v[84:85], -v[0:1]
	v_fma_f64 v[64:65], v[94:95], v[84:85], v[2:3]
	ds_load_b128 v[82:85], v148 offset:5760
	global_load_b128 v[92:95], v148, s[10:11] offset:18720
	s_wait_loadcnt_dscnt 0x201
	v_mul_f64_e32 v[0:1], v[76:77], v[72:73]
	v_mul_f64_e32 v[2:3], v[74:75], v[72:73]
	s_delay_alu instid0(VALU_DEP_2) | instskip(NEXT) | instid1(VALU_DEP_2)
	v_fma_f64 v[72:73], v[74:75], v[70:71], -v[0:1]
	v_fma_f64 v[74:75], v[76:77], v[70:71], v[2:3]
	s_wait_loadcnt 0x0
	v_mul_f64_e32 v[0:1], v[102:103], v[94:95]
	v_mul_f64_e32 v[2:3], v[100:101], v[94:95]
	s_delay_alu instid0(VALU_DEP_2) | instskip(NEXT) | instid1(VALU_DEP_2)
	v_fma_f64 v[48:49], v[100:101], v[92:93], -v[0:1]
	v_fma_f64 v[50:51], v[102:103], v[92:93], v[2:3]
	s_clause 0x1
	global_load_b128 v[100:103], v148, s[10:11] offset:33120
	global_load_b128 v[112:115], v148, s[10:11] offset:34560
	ds_load_b128 v[116:119], v148 offset:33120
	ds_load_b128 v[120:123], v148 offset:34560
	;; [unrolled: 1-line block ×4, first 2 shown]
	global_load_b128 v[12:15], v148, s[10:11] offset:23040
	s_wait_loadcnt_dscnt 0x203
	v_mul_f64_e32 v[0:1], v[118:119], v[102:103]
	v_mul_f64_e32 v[2:3], v[116:117], v[102:103]
	s_delay_alu instid0(VALU_DEP_2) | instskip(NEXT) | instid1(VALU_DEP_2)
	v_fma_f64 v[116:117], v[116:117], v[100:101], -v[0:1]
	v_fma_f64 v[118:119], v[118:119], v[100:101], v[2:3]
	v_mul_f64_e32 v[0:1], v[84:85], v[80:81]
	v_mul_f64_e32 v[2:3], v[82:83], v[80:81]
	global_load_b128 v[100:103], v148, s[10:11] offset:7200
	v_fma_f64 v[76:77], v[82:83], v[78:79], -v[0:1]
	v_fma_f64 v[78:79], v[84:85], v[78:79], v[2:3]
	v_mul_f64_e32 v[0:1], v[110:111], v[106:107]
	v_mul_f64_e32 v[2:3], v[108:109], v[106:107]
	s_delay_alu instid0(VALU_DEP_2) | instskip(NEXT) | instid1(VALU_DEP_2)
	v_fma_f64 v[80:81], v[108:109], v[104:105], -v[0:1]
	v_fma_f64 v[82:83], v[110:111], v[104:105], v[2:3]
	s_wait_loadcnt_dscnt 0x202
	v_mul_f64_e32 v[0:1], v[122:123], v[114:115]
	v_mul_f64_e32 v[2:3], v[120:121], v[114:115]
	ds_load_b128 v[104:107], v148 offset:7200
	global_load_b128 v[108:111], v148, s[10:11] offset:8640
	v_fma_f64 v[84:85], v[120:121], v[112:113], -v[0:1]
	v_fma_f64 v[86:87], v[122:123], v[112:113], v[2:3]
	ds_load_b128 v[112:115], v148 offset:8640
	global_load_b128 v[120:123], v148, s[10:11] offset:21600
	s_wait_loadcnt_dscnt 0x201
	v_mul_f64_e32 v[0:1], v[106:107], v[102:103]
	v_mul_f64_e32 v[2:3], v[104:105], v[102:103]
	s_delay_alu instid0(VALU_DEP_2) | instskip(NEXT) | instid1(VALU_DEP_2)
	v_fma_f64 v[102:103], v[104:105], v[100:101], -v[0:1]
	v_fma_f64 v[104:105], v[106:107], v[100:101], v[2:3]
	s_wait_loadcnt 0x0
	v_mul_f64_e32 v[0:1], v[128:129], v[122:123]
	v_mul_f64_e32 v[2:3], v[126:127], v[122:123]
	s_delay_alu instid0(VALU_DEP_2) | instskip(NEXT) | instid1(VALU_DEP_2)
	v_fma_f64 v[126:127], v[126:127], v[120:121], -v[0:1]
	v_fma_f64 v[128:129], v[128:129], v[120:121], v[2:3]
	s_clause 0x1
	global_load_b128 v[120:123], v148, s[10:11] offset:36000
	global_load_b128 v[4:7], v148, s[10:11] offset:37440
	ds_load_b128 v[92:95], v148 offset:36000
	ds_load_b128 v[0:3], v148 offset:37440
	s_wait_loadcnt_dscnt 0x101
	v_mul_f64_e32 v[16:17], v[94:95], v[122:123]
	v_mul_f64_e32 v[18:19], v[92:93], v[122:123]
	s_delay_alu instid0(VALU_DEP_2) | instskip(SKIP_1) | instid1(VALU_DEP_3)
	v_fma_f64 v[92:93], v[92:93], v[120:121], -v[16:17]
	v_mul_f64_e32 v[16:17], v[114:115], v[110:111]
	v_fma_f64 v[94:95], v[94:95], v[120:121], v[18:19]
	v_mul_f64_e32 v[18:19], v[112:113], v[110:111]
	ds_load_b128 v[120:123], v148 offset:11520
	v_fma_f64 v[106:107], v[112:113], v[108:109], -v[16:17]
	v_mul_f64_e32 v[16:17], v[10:11], v[14:15]
	v_mul_f64_e32 v[14:15], v[8:9], v[14:15]
	v_fma_f64 v[108:109], v[114:115], v[108:109], v[18:19]
	global_load_b128 v[110:113], v148, s[10:11] offset:11520
	v_fma_f64 v[36:37], v[8:9], v[12:13], -v[16:17]
	s_wait_loadcnt_dscnt 0x101
	v_mul_f64_e32 v[8:9], v[2:3], v[6:7]
	v_mul_f64_e32 v[6:7], v[0:1], v[6:7]
	v_fma_f64 v[38:39], v[10:11], v[12:13], v[14:15]
	ds_load_b128 v[12:15], v148 offset:10080
	v_fma_f64 v[32:33], v[0:1], v[4:5], -v[8:9]
	v_fma_f64 v[34:35], v[2:3], v[4:5], v[6:7]
	global_load_b128 v[4:7], v148, s[10:11] offset:10080
	ds_load_b128 v[8:11], v148 offset:25920
	s_wait_loadcnt_dscnt 0x1
	v_mul_f64_e32 v[0:1], v[14:15], v[6:7]
	v_mul_f64_e32 v[2:3], v[12:13], v[6:7]
	s_delay_alu instid0(VALU_DEP_2) | instskip(NEXT) | instid1(VALU_DEP_2)
	v_fma_f64 v[20:21], v[12:13], v[4:5], -v[0:1]
	v_fma_f64 v[22:23], v[14:15], v[4:5], v[2:3]
	global_load_b128 v[4:7], v148, s[10:11] offset:24480
	ds_load_b128 v[0:3], v148 offset:24480
	global_load_b128 v[12:15], v148, s[10:11] offset:25920
	s_wait_loadcnt_dscnt 0x100
	v_mul_f64_e32 v[16:17], v[2:3], v[6:7]
	v_mul_f64_e32 v[6:7], v[0:1], v[6:7]
	s_delay_alu instid0(VALU_DEP_2) | instskip(NEXT) | instid1(VALU_DEP_2)
	v_fma_f64 v[16:17], v[0:1], v[4:5], -v[16:17]
	v_fma_f64 v[18:19], v[2:3], v[4:5], v[6:7]
	s_clause 0x1
	global_load_b128 v[4:7], v148, s[10:11] offset:38880
	global_load_b128 v[0:3], v148, s[10:11] offset:40320
	ds_load_b128 v[153:156], v148 offset:38880
	ds_load_b128 v[157:160], v148 offset:40320
	s_wait_loadcnt_dscnt 0x101
	v_mul_f64_e32 v[52:53], v[155:156], v[6:7]
	v_mul_f64_e32 v[6:7], v[153:154], v[6:7]
	s_delay_alu instid0(VALU_DEP_2) | instskip(SKIP_2) | instid1(VALU_DEP_4)
	v_fma_f64 v[153:154], v[153:154], v[4:5], -v[52:53]
	v_mul_f64_e32 v[52:53], v[10:11], v[14:15]
	v_mul_f64_e32 v[14:15], v[8:9], v[14:15]
	v_fma_f64 v[155:156], v[155:156], v[4:5], v[6:7]
	v_mul_f64_e32 v[4:5], v[122:123], v[112:113]
	v_mul_f64_e32 v[6:7], v[120:121], v[112:113]
	v_fma_f64 v[8:9], v[8:9], v[12:13], -v[52:53]
	v_fma_f64 v[10:11], v[10:11], v[12:13], v[14:15]
	s_wait_loadcnt_dscnt 0x0
	v_mul_f64_e32 v[12:13], v[159:160], v[2:3]
	v_mul_f64_e32 v[2:3], v[157:158], v[2:3]
	v_fma_f64 v[4:5], v[120:121], v[110:111], -v[4:5]
	v_fma_f64 v[6:7], v[122:123], v[110:111], v[6:7]
	s_delay_alu instid0(VALU_DEP_4) | instskip(NEXT) | instid1(VALU_DEP_4)
	v_fma_f64 v[12:13], v[157:158], v[0:1], -v[12:13]
	v_fma_f64 v[14:15], v[159:160], v[0:1], v[2:3]
	v_mul_f64_e32 v[0:1], v[30:31], v[26:27]
	v_mul_f64_e32 v[2:3], v[28:29], v[26:27]
	;; [unrolled: 1-line block ×3, first 2 shown]
	s_delay_alu instid0(VALU_DEP_3) | instskip(NEXT) | instid1(VALU_DEP_3)
	v_fma_f64 v[0:1], v[28:29], v[24:25], -v[0:1]
	v_fma_f64 v[2:3], v[30:31], v[24:25], v[2:3]
	v_mul_f64_e32 v[24:25], v[46:47], v[42:43]
	v_mul_f64_e32 v[28:29], v[98:99], v[132:133]
	;; [unrolled: 1-line block ×3, first 2 shown]
	v_fma_f64 v[26:27], v[46:47], v[40:41], v[26:27]
	s_delay_alu instid0(VALU_DEP_4) | instskip(NEXT) | instid1(VALU_DEP_4)
	v_fma_f64 v[24:25], v[44:45], v[40:41], -v[24:25]
	v_fma_f64 v[28:29], v[96:97], v[130:131], -v[28:29]
	s_delay_alu instid0(VALU_DEP_4)
	v_fma_f64 v[30:31], v[98:99], v[130:131], v[30:31]
	ds_store_b128 v148, v[149:152]
	ds_store_b128 v148, v[142:145] offset:14400
	ds_store_b128 v148, v[138:141] offset:28800
	;; [unrolled: 1-line block ×29, first 2 shown]
	global_wb scope:SCOPE_SE
	s_wait_dscnt 0x0
	s_barrier_signal -1
	s_barrier_wait -1
	global_inv scope:SCOPE_SE
	ds_load_b128 v[5:8], v148
	ds_load_b128 v[0:3], v148 offset:14400
	ds_load_b128 v[9:12], v148 offset:12960
	;; [unrolled: 1-line block ×5, first 2 shown]
	s_wait_dscnt 0x4
	v_add_f64_e32 v[25:26], v[5:6], v[0:1]
	v_add_f64_e32 v[27:28], v[7:8], v[2:3]
	s_wait_dscnt 0x1
	v_add_f64_e32 v[93:94], v[0:1], v[17:18]
	v_add_f64_e64 v[95:96], v[2:3], -v[19:20]
	v_add_f64_e32 v[97:98], v[2:3], v[19:20]
	v_add_f64_e64 v[99:100], v[0:1], -v[17:18]
	s_wait_dscnt 0x0
	v_add_f64_e32 v[170:171], v[23:24], v[15:16]
	v_add_f64_e64 v[172:173], v[21:22], -v[13:14]
	v_add_f64_e32 v[0:1], v[25:26], v[17:18]
	v_add_f64_e32 v[2:3], v[27:28], v[19:20]
	ds_load_b128 v[17:20], v148 offset:15840
	ds_load_b128 v[25:28], v148 offset:1440
	ds_load_b128 v[29:32], v148 offset:2880
	ds_load_b128 v[33:36], v148 offset:17280
	ds_load_b128 v[37:40], v148 offset:30240
	ds_load_b128 v[41:44], v148 offset:31680
	s_wait_dscnt 0x4
	v_add_f64_e32 v[45:46], v[25:26], v[17:18]
	v_add_f64_e32 v[47:48], v[27:28], v[19:20]
	s_wait_dscnt 0x1
	v_add_f64_e32 v[101:102], v[17:18], v[37:38]
	v_add_f64_e64 v[103:104], v[19:20], -v[39:40]
	v_add_f64_e32 v[105:106], v[19:20], v[39:40]
	v_add_f64_e64 v[107:108], v[17:18], -v[37:38]
	s_wait_dscnt 0x0
	v_add_f64_e32 v[109:110], v[33:34], v[41:42]
	v_add_f64_e64 v[111:112], v[35:36], -v[43:44]
	v_add_f64_e32 v[113:114], v[35:36], v[43:44]
	v_add_f64_e64 v[115:116], v[33:34], -v[41:42]
	v_add_f64_e32 v[17:18], v[45:46], v[37:38]
	v_add_f64_e32 v[19:20], v[47:48], v[39:40]
	v_add_f64_e32 v[37:38], v[29:30], v[33:34]
	v_add_f64_e32 v[39:40], v[31:32], v[35:36]
	s_delay_alu instid0(VALU_DEP_2) | instskip(NEXT) | instid1(VALU_DEP_2)
	v_add_f64_e32 v[33:34], v[37:38], v[41:42]
	v_add_f64_e32 v[35:36], v[39:40], v[43:44]
	ds_load_b128 v[37:40], v148 offset:18720
	ds_load_b128 v[41:44], v148 offset:4320
	ds_load_b128 v[45:48], v148 offset:5760
	ds_load_b128 v[49:52], v148 offset:20160
	ds_load_b128 v[53:56], v148 offset:33120
	ds_load_b128 v[57:60], v148 offset:34560
	s_wait_dscnt 0x4
	v_add_f64_e32 v[61:62], v[41:42], v[37:38]
	v_add_f64_e32 v[63:64], v[43:44], v[39:40]
	s_wait_dscnt 0x1
	v_add_f64_e32 v[117:118], v[37:38], v[53:54]
	v_add_f64_e64 v[119:120], v[39:40], -v[55:56]
	v_add_f64_e32 v[121:122], v[39:40], v[55:56]
	v_add_f64_e64 v[123:124], v[37:38], -v[53:54]
	s_wait_dscnt 0x0
	v_add_f64_e32 v[125:126], v[49:50], v[57:58]
	v_add_f64_e64 v[127:128], v[51:52], -v[59:60]
	v_add_f64_e32 v[129:130], v[51:52], v[59:60]
	v_add_f64_e64 v[131:132], v[49:50], -v[57:58]
	v_add_f64_e32 v[37:38], v[61:62], v[53:54]
	v_add_f64_e32 v[39:40], v[63:64], v[55:56]
	v_add_f64_e32 v[53:54], v[45:46], v[49:50]
	v_add_f64_e32 v[55:56], v[47:48], v[51:52]
	s_delay_alu instid0(VALU_DEP_2) | instskip(NEXT) | instid1(VALU_DEP_2)
	;; [unrolled: 26-line block ×3, first 2 shown]
	v_add_f64_e32 v[65:66], v[69:70], v[73:74]
	v_add_f64_e32 v[67:68], v[71:72], v[75:76]
	ds_load_b128 v[69:72], v148 offset:24480
	ds_load_b128 v[73:76], v148 offset:10080
	;; [unrolled: 1-line block ×6, first 2 shown]
	global_wb scope:SCOPE_SE
	s_wait_dscnt 0x0
	s_barrier_signal -1
	s_barrier_wait -1
	global_inv scope:SCOPE_SE
	v_add_f64_e32 v[155:156], v[75:76], v[71:72]
	v_add_f64_e32 v[153:154], v[73:74], v[69:70]
	v_add_f64_e64 v[159:160], v[71:72], -v[87:88]
	v_add_f64_e32 v[161:162], v[71:72], v[87:88]
	v_add_f64_e32 v[166:167], v[83:84], v[91:92]
	;; [unrolled: 1-line block ×3, first 2 shown]
	v_add_f64_e64 v[163:164], v[69:70], -v[85:86]
	v_add_f64_e64 v[168:169], v[81:82], -v[89:90]
	v_add_f64_e32 v[71:72], v[155:156], v[87:88]
	v_add_f64_e32 v[87:88], v[79:80], v[83:84]
	v_add_f64_e64 v[155:156], v[83:84], -v[91:92]
	v_add_f64_e32 v[69:70], v[153:154], v[85:86]
	v_add_f64_e32 v[85:86], v[77:78], v[81:82]
	;; [unrolled: 1-line block ×5, first 2 shown]
	v_add_f64_e64 v[91:92], v[23:24], -v[15:16]
	v_fma_f64 v[23:24], v[97:98], -0.5, v[7:8]
	scratch_load_b32 v8, off, off offset:496 th:TH_LOAD_LU ; 4-byte Folded Reload
	v_add_f64_e32 v[81:82], v[85:86], v[89:90]
	v_add_f64_e32 v[85:86], v[9:10], v[21:22]
	;; [unrolled: 1-line block ×3, first 2 shown]
	v_fma_f64 v[21:22], v[93:94], -0.5, v[5:6]
	v_add_f64_e32 v[15:16], v[87:88], v[15:16]
	v_fma_f64 v[6:7], v[99:100], s[14:15], v[23:24]
	v_fma_f64 v[23:24], v[99:100], s[12:13], v[23:24]
	v_add_f64_e32 v[13:14], v[85:86], v[13:14]
	v_fma_f64 v[4:5], v[95:96], s[12:13], v[21:22]
	v_fma_f64 v[21:22], v[95:96], s[14:15], v[21:22]
	s_wait_loadcnt 0x0
	ds_store_b128 v8, v[0:3]
	ds_store_b128 v8, v[4:7] offset:16
	ds_store_b128 v8, v[21:24] offset:32
	scratch_load_b32 v8, off, off offset:500 th:TH_LOAD_LU ; 4-byte Folded Reload
	v_fma_f64 v[2:3], v[101:102], -0.5, v[25:26]
	v_fma_f64 v[6:7], v[105:106], -0.5, v[27:28]
	s_delay_alu instid0(VALU_DEP_2) | instskip(SKIP_1) | instid1(VALU_DEP_3)
	v_fma_f64 v[0:1], v[103:104], s[12:13], v[2:3]
	v_fma_f64 v[4:5], v[103:104], s[14:15], v[2:3]
	v_fma_f64 v[2:3], v[107:108], s[14:15], v[6:7]
	v_fma_f64 v[6:7], v[107:108], s[12:13], v[6:7]
	s_wait_loadcnt 0x0
	ds_store_b128 v8, v[17:20]
	ds_store_b128 v8, v[0:3] offset:16
	ds_store_b128 v8, v[4:7] offset:32
	scratch_load_b32 v8, off, off offset:492 th:TH_LOAD_LU ; 4-byte Folded Reload
	v_fma_f64 v[2:3], v[109:110], -0.5, v[29:30]
	v_fma_f64 v[6:7], v[113:114], -0.5, v[31:32]
	s_delay_alu instid0(VALU_DEP_2) | instskip(SKIP_1) | instid1(VALU_DEP_3)
	v_fma_f64 v[0:1], v[111:112], s[12:13], v[2:3]
	v_fma_f64 v[4:5], v[111:112], s[14:15], v[2:3]
	;; [unrolled: 12-line block ×9, first 2 shown]
	v_fma_f64 v[2:3], v[172:173], s[14:15], v[6:7]
	v_fma_f64 v[6:7], v[172:173], s[12:13], v[6:7]
	s_wait_loadcnt 0x0
	ds_store_b128 v8, v[13:16]
	ds_store_b128 v8, v[0:3] offset:16
	ds_store_b128 v8, v[4:7] offset:32
	global_wb scope:SCOPE_SE
	s_wait_dscnt 0x0
	s_barrier_signal -1
	s_barrier_wait -1
	global_inv scope:SCOPE_SE
	ds_load_b128 v[0:3], v148 offset:4320
	ds_load_b128 v[4:7], v148 offset:5760
	scratch_load_b128 v[10:13], off, off offset:1696 th:TH_LOAD_LU ; 16-byte Folded Reload
	s_wait_loadcnt_dscnt 0x1
	v_mul_f64_e32 v[8:9], v[12:13], v[2:3]
	s_delay_alu instid0(VALU_DEP_1) | instskip(SKIP_1) | instid1(VALU_DEP_1)
	v_fma_f64 v[96:97], v[10:11], v[0:1], v[8:9]
	v_mul_f64_e32 v[0:1], v[12:13], v[0:1]
	v_fma_f64 v[98:99], v[10:11], v[2:3], -v[0:1]
	ds_load_b128 v[0:3], v148 offset:8640
	ds_load_b128 v[8:11], v148 offset:7200
	scratch_load_b128 v[14:17], off, off offset:1520 th:TH_LOAD_LU ; 16-byte Folded Reload
	s_wait_loadcnt_dscnt 0x1
	v_mul_f64_e32 v[12:13], v[16:17], v[2:3]
	s_delay_alu instid0(VALU_DEP_1) | instskip(SKIP_1) | instid1(VALU_DEP_1)
	v_fma_f64 v[100:101], v[14:15], v[0:1], v[12:13]
	v_mul_f64_e32 v[0:1], v[16:17], v[0:1]
	v_fma_f64 v[102:103], v[14:15], v[2:3], -v[0:1]
	;; [unrolled: 9-line block ×5, first 2 shown]
	ds_load_b128 v[0:3], v148 offset:25920
	ds_load_b128 v[28:31], v148 offset:24480
	scratch_load_b128 v[32:35], off, off offset:1296 th:TH_LOAD_LU ; 16-byte Folded Reload
	s_wait_loadcnt_dscnt 0x1
	v_mul_f64_e32 v[24:25], v[34:35], v[2:3]
	s_delay_alu instid0(VALU_DEP_1) | instskip(SKIP_1) | instid1(VALU_DEP_2)
	v_fma_f64 v[116:117], v[32:33], v[0:1], v[24:25]
	v_mul_f64_e32 v[0:1], v[34:35], v[0:1]
	v_add_f64_e64 v[166:167], v[108:109], -v[116:117]
	s_delay_alu instid0(VALU_DEP_2)
	v_fma_f64 v[118:119], v[32:33], v[2:3], -v[0:1]
	ds_load_b128 v[0:3], v148 offset:30240
	ds_load_b128 v[24:27], v148 offset:31680
	scratch_load_b128 v[34:37], off, off offset:1344 th:TH_LOAD_LU ; 16-byte Folded Reload
	v_add_f64_e64 v[161:162], v[110:111], -v[118:119]
	s_wait_loadcnt_dscnt 0x1
	v_mul_f64_e32 v[32:33], v[36:37], v[2:3]
	s_delay_alu instid0(VALU_DEP_1) | instskip(SKIP_1) | instid1(VALU_DEP_2)
	v_fma_f64 v[120:121], v[34:35], v[0:1], v[32:33]
	v_mul_f64_e32 v[0:1], v[36:37], v[0:1]
	v_add_f64_e64 v[153:154], v[112:113], -v[120:121]
	s_delay_alu instid0(VALU_DEP_2)
	v_fma_f64 v[122:123], v[34:35], v[2:3], -v[0:1]
	ds_load_b128 v[0:3], v148 offset:34560
	ds_load_b128 v[44:47], v148 offset:33120
	scratch_load_b128 v[34:37], off, off offset:1280 th:TH_LOAD_LU ; 16-byte Folded Reload
	v_add_f64_e64 v[157:158], v[114:115], -v[122:123]
	;; [unrolled: 12-line block ×3, first 2 shown]
	s_wait_loadcnt_dscnt 0x1
	v_mul_f64_e32 v[36:37], v[40:41], v[2:3]
	s_delay_alu instid0(VALU_DEP_1) | instskip(SKIP_1) | instid1(VALU_DEP_2)
	v_fma_f64 v[128:129], v[38:39], v[0:1], v[36:37]
	v_mul_f64_e32 v[0:1], v[40:41], v[0:1]
	v_add_f64_e64 v[151:152], v[104:105], -v[128:129]
	s_delay_alu instid0(VALU_DEP_2) | instskip(SKIP_4) | instid1(VALU_DEP_1)
	v_fma_f64 v[130:131], v[38:39], v[2:3], -v[0:1]
	scratch_load_b128 v[36:39], off, off offset:1328 th:TH_LOAD_LU ; 16-byte Folded Reload
	v_add_f64_e64 v[155:156], v[106:107], -v[130:131]
	s_wait_loadcnt 0x0
	v_mul_f64_e32 v[0:1], v[38:39], v[6:7]
	v_fma_f64 v[56:57], v[36:37], v[4:5], v[0:1]
	v_mul_f64_e32 v[0:1], v[38:39], v[4:5]
	s_delay_alu instid0(VALU_DEP_1)
	v_fma_f64 v[58:59], v[36:37], v[6:7], -v[0:1]
	ds_load_b128 v[0:3], v148 offset:10080
	ds_load_b128 v[4:7], v148 offset:11520
	scratch_load_b128 v[38:41], off, off offset:1360 th:TH_LOAD_LU ; 16-byte Folded Reload
	s_wait_loadcnt_dscnt 0x1
	v_mul_f64_e32 v[36:37], v[40:41], v[2:3]
	s_delay_alu instid0(VALU_DEP_1) | instskip(SKIP_1) | instid1(VALU_DEP_1)
	v_fma_f64 v[88:89], v[38:39], v[0:1], v[36:37]
	v_mul_f64_e32 v[0:1], v[40:41], v[0:1]
	v_fma_f64 v[90:91], v[38:39], v[2:3], -v[0:1]
	scratch_load_b128 v[36:39], off, off offset:1376 th:TH_LOAD_LU ; 16-byte Folded Reload
	s_wait_loadcnt 0x0
	v_mul_f64_e32 v[0:1], v[38:39], v[14:15]
	s_delay_alu instid0(VALU_DEP_1) | instskip(SKIP_1) | instid1(VALU_DEP_1)
	v_fma_f64 v[78:79], v[36:37], v[12:13], v[0:1]
	v_mul_f64_e32 v[0:1], v[38:39], v[12:13]
	v_fma_f64 v[76:77], v[36:37], v[14:15], -v[0:1]
	ds_load_b128 v[0:3], v148 offset:18720
	ds_load_b128 v[12:15], v148 offset:20160
	scratch_load_b128 v[38:41], off, off offset:1392 th:TH_LOAD_LU ; 16-byte Folded Reload
	s_wait_loadcnt_dscnt 0x1
	v_mul_f64_e32 v[36:37], v[40:41], v[2:3]
	s_delay_alu instid0(VALU_DEP_1) | instskip(SKIP_1) | instid1(VALU_DEP_1)
	v_fma_f64 v[92:93], v[38:39], v[0:1], v[36:37]
	v_mul_f64_e32 v[0:1], v[40:41], v[0:1]
	v_fma_f64 v[66:67], v[38:39], v[2:3], -v[0:1]
	scratch_load_b128 v[36:39], off, off offset:1424 th:TH_LOAD_LU ; 16-byte Folded Reload
	s_wait_loadcnt 0x0
	v_mul_f64_e32 v[0:1], v[38:39], v[22:23]
	s_delay_alu instid0(VALU_DEP_1) | instskip(SKIP_1) | instid1(VALU_DEP_1)
	v_fma_f64 v[94:95], v[36:37], v[20:21], v[0:1]
	v_mul_f64_e32 v[0:1], v[38:39], v[20:21]
	;; [unrolled: 16-line block ×3, first 2 shown]
	v_fma_f64 v[60:61], v[36:37], v[26:27], -v[0:1]
	ds_load_b128 v[0:3], v148 offset:36000
	ds_load_b128 v[84:87], v148 offset:37440
	scratch_load_b128 v[36:39], off, off offset:1408 th:TH_LOAD_LU ; 16-byte Folded Reload
	s_wait_loadcnt_dscnt 0x1
	v_mul_f64_e32 v[24:25], v[38:39], v[2:3]
	s_delay_alu instid0(VALU_DEP_1) | instskip(SKIP_2) | instid1(VALU_DEP_1)
	v_fma_f64 v[72:73], v[36:37], v[0:1], v[24:25]
	scratch_load_b128 v[24:27], off, off offset:1440 th:TH_LOAD_LU ; 16-byte Folded Reload
	v_mul_f64_e32 v[0:1], v[38:39], v[0:1]
	v_fma_f64 v[74:75], v[36:37], v[2:3], -v[0:1]
	s_wait_loadcnt 0x0
	v_mul_f64_e32 v[0:1], v[26:27], v[34:35]
	s_delay_alu instid0(VALU_DEP_1) | instskip(SKIP_1) | instid1(VALU_DEP_1)
	v_fma_f64 v[70:71], v[24:25], v[32:33], v[0:1]
	v_mul_f64_e32 v[0:1], v[26:27], v[32:33]
	v_fma_f64 v[68:69], v[24:25], v[34:35], -v[0:1]
	scratch_load_b128 v[24:27], off, off offset:1568 th:TH_LOAD_LU ; 16-byte Folded Reload
	s_wait_loadcnt 0x0
	v_mul_f64_e32 v[0:1], v[26:27], v[10:11]
	s_delay_alu instid0(VALU_DEP_1) | instskip(SKIP_1) | instid1(VALU_DEP_1)
	v_fma_f64 v[48:49], v[24:25], v[8:9], v[0:1]
	v_mul_f64_e32 v[0:1], v[26:27], v[8:9]
	v_fma_f64 v[32:33], v[24:25], v[10:11], -v[0:1]
	scratch_load_b128 v[8:11], off, off offset:1584 th:TH_LOAD_LU ; 16-byte Folded Reload
	s_wait_loadcnt 0x0
	v_mul_f64_e32 v[0:1], v[10:11], v[6:7]
	s_delay_alu instid0(VALU_DEP_1)
	v_fma_f64 v[50:51], v[8:9], v[4:5], v[0:1]
	v_mul_f64_e32 v[0:1], v[10:11], v[4:5]
	scratch_load_b128 v[2:5], off, off offset:1600 th:TH_LOAD_LU ; 16-byte Folded Reload
	v_fma_f64 v[40:41], v[8:9], v[6:7], -v[0:1]
	s_wait_loadcnt 0x0
	v_mul_f64_e32 v[0:1], v[4:5], v[18:19]
	s_delay_alu instid0(VALU_DEP_1) | instskip(SKIP_1) | instid1(VALU_DEP_1)
	v_fma_f64 v[34:35], v[2:3], v[16:17], v[0:1]
	v_mul_f64_e32 v[0:1], v[4:5], v[16:17]
	v_fma_f64 v[24:25], v[2:3], v[18:19], -v[0:1]
	scratch_load_b128 v[2:5], off, off offset:1616 th:TH_LOAD_LU ; 16-byte Folded Reload
	s_wait_loadcnt 0x0
	v_mul_f64_e32 v[0:1], v[4:5], v[14:15]
	s_delay_alu instid0(VALU_DEP_1) | instskip(SKIP_1) | instid1(VALU_DEP_1)
	v_fma_f64 v[26:27], v[2:3], v[12:13], v[0:1]
	v_mul_f64_e32 v[0:1], v[4:5], v[12:13]
	v_fma_f64 v[36:37], v[2:3], v[14:15], -v[0:1]
	scratch_load_b128 v[2:5], off, off offset:1632 th:TH_LOAD_LU ; 16-byte Folded Reload
	;; [unrolled: 7-line block ×5, first 2 shown]
	s_wait_loadcnt_dscnt 0x0
	v_mul_f64_e32 v[0:1], v[4:5], v[86:87]
	s_delay_alu instid0(VALU_DEP_1) | instskip(SKIP_1) | instid1(VALU_DEP_1)
	v_fma_f64 v[52:53], v[2:3], v[84:85], v[0:1]
	v_mul_f64_e32 v[0:1], v[4:5], v[84:85]
	v_fma_f64 v[20:21], v[2:3], v[86:87], -v[0:1]
	ds_load_b128 v[0:3], v148 offset:41760
	ds_load_b128 v[4:7], v148
	scratch_load_b128 v[10:13], off, off offset:1536 th:TH_LOAD_LU ; 16-byte Folded Reload
	s_wait_loadcnt_dscnt 0x1
	v_mul_f64_e32 v[8:9], v[12:13], v[2:3]
	s_delay_alu instid0(VALU_DEP_1) | instskip(SKIP_2) | instid1(VALU_DEP_2)
	v_fma_f64 v[54:55], v[10:11], v[0:1], v[8:9]
	v_mul_f64_e32 v[0:1], v[12:13], v[0:1]
	v_add_f64_e32 v[8:9], v[110:111], v[118:119]
	v_fma_f64 v[22:23], v[10:11], v[2:3], -v[0:1]
	v_add_f64_e32 v[0:1], v[108:109], v[116:117]
	v_add_f64_e32 v[2:3], v[100:101], v[124:125]
	s_wait_dscnt 0x0
	s_delay_alu instid0(VALU_DEP_4)
	v_fma_f64 v[132:133], v[8:9], -0.5, v[6:7]
	v_add_f64_e32 v[8:9], v[102:103], v[126:127]
	v_add_f64_e32 v[10:11], v[98:99], v[106:107]
	v_fma_f64 v[0:1], v[0:1], -0.5, v[4:5]
	v_fma_f64 v[2:3], v[2:3], -0.5, v[4:5]
	v_add_f64_e32 v[4:5], v[4:5], v[100:101]
	v_fma_f64 v[134:135], v[8:9], -0.5, v[6:7]
	v_add_f64_e32 v[6:7], v[6:7], v[102:103]
	v_add_f64_e32 v[8:9], v[96:97], v[104:105]
	;; [unrolled: 1-line block ×4, first 2 shown]
	s_delay_alu instid0(VALU_DEP_4) | instskip(NEXT) | instid1(VALU_DEP_4)
	v_add_f64_e32 v[6:7], v[6:7], v[110:111]
	v_add_f64_e32 v[8:9], v[8:9], v[112:113]
	s_delay_alu instid0(VALU_DEP_4) | instskip(NEXT) | instid1(VALU_DEP_4)
	v_add_f64_e32 v[10:11], v[10:11], v[122:123]
	v_add_f64_e32 v[4:5], v[4:5], v[116:117]
	;; [unrolled: 3-line block ×5, first 2 shown]
	s_delay_alu instid0(VALU_DEP_2) | instskip(NEXT) | instid1(VALU_DEP_2)
	v_add_f64_e32 v[46:47], v[6:7], v[10:11]
	v_add_f64_e32 v[44:45], v[4:5], v[8:9]
	v_add_f64_e64 v[8:9], v[4:5], -v[8:9]
	v_add_f64_e64 v[10:11], v[6:7], -v[10:11]
	;; [unrolled: 1-line block ×4, first 2 shown]
	s_delay_alu instid0(VALU_DEP_1) | instskip(SKIP_2) | instid1(VALU_DEP_1)
	v_add_f64_e32 v[136:137], v[4:5], v[6:7]
	v_add_f64_e64 v[4:5], v[102:103], -v[110:111]
	v_add_f64_e64 v[6:7], v[126:127], -v[118:119]
	v_add_f64_e32 v[138:139], v[4:5], v[6:7]
	v_add_f64_e64 v[4:5], v[104:105], -v[112:113]
	v_add_f64_e64 v[6:7], v[128:129], -v[120:121]
	s_delay_alu instid0(VALU_DEP_1) | instskip(SKIP_2) | instid1(VALU_DEP_1)
	v_add_f64_e32 v[140:141], v[4:5], v[6:7]
	v_add_f64_e64 v[4:5], v[106:107], -v[114:115]
	v_add_f64_e64 v[6:7], v[130:131], -v[122:123]
	v_add_f64_e32 v[142:143], v[4:5], v[6:7]
	v_add_f64_e32 v[4:5], v[112:113], v[120:121]
	s_delay_alu instid0(VALU_DEP_1) | instskip(SKIP_1) | instid1(VALU_DEP_2)
	v_fma_f64 v[144:145], v[4:5], -0.5, v[96:97]
	v_add_f64_e32 v[4:5], v[114:115], v[122:123]
	v_fma_f64 v[6:7], v[155:156], s[24:25], v[144:145]
	s_delay_alu instid0(VALU_DEP_2) | instskip(NEXT) | instid1(VALU_DEP_2)
	v_fma_f64 v[149:150], v[4:5], -0.5, v[98:99]
	v_fma_f64 v[6:7], v[157:158], s[20:21], v[6:7]
	s_delay_alu instid0(VALU_DEP_2) | instskip(NEXT) | instid1(VALU_DEP_2)
	v_fma_f64 v[4:5], v[151:152], s[22:23], v[149:150]
	v_fma_f64 v[6:7], v[140:141], s[18:19], v[6:7]
	s_delay_alu instid0(VALU_DEP_2) | instskip(NEXT) | instid1(VALU_DEP_1)
	v_fma_f64 v[4:5], v[153:154], s[16:17], v[4:5]
	v_fma_f64 v[4:5], v[142:143], s[18:19], v[4:5]
	s_delay_alu instid0(VALU_DEP_1) | instskip(SKIP_1) | instid1(VALU_DEP_2)
	v_mul_f64_e32 v[12:13], s[20:21], v[4:5]
	v_mul_f64_e32 v[4:5], s[26:27], v[4:5]
	v_fma_f64 v[12:13], v[6:7], s[26:27], v[12:13]
	s_delay_alu instid0(VALU_DEP_2) | instskip(SKIP_3) | instid1(VALU_DEP_3)
	v_fma_f64 v[14:15], v[6:7], s[16:17], v[4:5]
	v_fma_f64 v[4:5], v[159:160], s[24:25], v[0:1]
	;; [unrolled: 1-line block ×5, first 2 shown]
	s_delay_alu instid0(VALU_DEP_3) | instskip(NEXT) | instid1(VALU_DEP_3)
	v_fma_f64 v[6:7], v[166:167], s[16:17], v[6:7]
	v_fma_f64 v[0:1], v[161:162], s[16:17], v[0:1]
	s_delay_alu instid0(VALU_DEP_3) | instskip(NEXT) | instid1(VALU_DEP_3)
	v_fma_f64 v[84:85], v[136:137], s[18:19], v[4:5]
	v_fma_f64 v[86:87], v[138:139], s[18:19], v[6:7]
	s_delay_alu instid0(VALU_DEP_3) | instskip(NEXT) | instid1(VALU_DEP_3)
	v_fma_f64 v[0:1], v[136:137], s[18:19], v[0:1]
	v_add_f64_e32 v[4:5], v[84:85], v[12:13]
	v_add_f64_e64 v[12:13], v[84:85], -v[12:13]
	v_add_f64_e64 v[84:85], v[108:109], -v[100:101]
	;; [unrolled: 1-line block ×4, first 2 shown]
	v_add_f64_e32 v[106:107], v[106:107], v[130:131]
	v_add_f64_e32 v[6:7], v[86:87], v[14:15]
	v_add_f64_e64 v[14:15], v[86:87], -v[14:15]
	v_add_f64_e64 v[86:87], v[116:117], -v[124:125]
	v_add_f64_e64 v[100:101], v[110:111], -v[102:103]
	v_add_f64_e64 v[102:103], v[118:119], -v[126:127]
	v_add_f64_e32 v[104:105], v[104:105], v[128:129]
	v_add_f64_e64 v[110:111], v[120:121], -v[128:129]
	v_add_f64_e64 v[114:115], v[122:123], -v[130:131]
	;; [unrolled: 1-line block ×5, first 2 shown]
	v_fma_f64 v[106:107], v[106:107], -0.5, v[98:99]
	v_add_f64_e32 v[116:117], v[84:85], v[86:87]
	v_add_f64_e32 v[100:101], v[100:101], v[102:103]
	v_fma_f64 v[102:103], v[104:105], -0.5, v[96:97]
	v_add_f64_e32 v[104:105], v[108:109], v[110:111]
	v_add_f64_e32 v[108:109], v[112:113], v[114:115]
	v_fma_f64 v[84:85], v[153:154], s[24:25], v[106:107]
	s_delay_alu instid0(VALU_DEP_4) | instskip(SKIP_1) | instid1(VALU_DEP_3)
	v_fma_f64 v[86:87], v[157:158], s[22:23], v[102:103]
	v_fma_f64 v[102:103], v[157:158], s[24:25], v[102:103]
	;; [unrolled: 1-line block ×3, first 2 shown]
	s_delay_alu instid0(VALU_DEP_3) | instskip(NEXT) | instid1(VALU_DEP_3)
	v_fma_f64 v[86:87], v[155:156], s[20:21], v[86:87]
	v_fma_f64 v[102:103], v[155:156], s[16:17], v[102:103]
	s_delay_alu instid0(VALU_DEP_3) | instskip(NEXT) | instid1(VALU_DEP_3)
	v_fma_f64 v[84:85], v[108:109], s[18:19], v[84:85]
	v_fma_f64 v[86:87], v[104:105], s[18:19], v[86:87]
	s_delay_alu instid0(VALU_DEP_3) | instskip(NEXT) | instid1(VALU_DEP_3)
	v_fma_f64 v[102:103], v[104:105], s[18:19], v[102:103]
	v_mul_f64_e32 v[96:97], s[24:25], v[84:85]
	v_mul_f64_e32 v[84:85], s[18:19], v[84:85]
	s_delay_alu instid0(VALU_DEP_2) | instskip(NEXT) | instid1(VALU_DEP_2)
	v_fma_f64 v[96:97], v[86:87], s[18:19], v[96:97]
	v_fma_f64 v[98:99], v[86:87], s[22:23], v[84:85]
	;; [unrolled: 1-line block ×5, first 2 shown]
	s_delay_alu instid0(VALU_DEP_3) | instskip(NEXT) | instid1(VALU_DEP_3)
	v_fma_f64 v[84:85], v[159:160], s[20:21], v[84:85]
	v_fma_f64 v[86:87], v[163:164], s[16:17], v[86:87]
	s_delay_alu instid0(VALU_DEP_3) | instskip(NEXT) | instid1(VALU_DEP_3)
	v_fma_f64 v[2:3], v[159:160], s[16:17], v[2:3]
	v_fma_f64 v[110:111], v[116:117], s[18:19], v[84:85]
	;; [unrolled: 3-line block ×3, first 2 shown]
	s_delay_alu instid0(VALU_DEP_3) | instskip(SKIP_4) | instid1(VALU_DEP_3)
	v_add_f64_e32 v[84:85], v[110:111], v[96:97]
	v_add_f64_e64 v[96:97], v[110:111], -v[96:97]
	v_fma_f64 v[110:111], v[166:167], s[22:23], v[134:135]
	v_add_f64_e32 v[86:87], v[112:113], v[98:99]
	v_add_f64_e64 v[98:99], v[112:113], -v[98:99]
	v_fma_f64 v[110:111], v[163:164], s[20:21], v[110:111]
	s_delay_alu instid0(VALU_DEP_1) | instskip(SKIP_1) | instid1(VALU_DEP_1)
	v_fma_f64 v[110:111], v[100:101], s[18:19], v[110:111]
	v_fma_f64 v[100:101], v[153:154], s[22:23], v[106:107]
	v_fma_f64 v[100:101], v[151:152], s[20:21], v[100:101]
	s_delay_alu instid0(VALU_DEP_1) | instskip(SKIP_1) | instid1(VALU_DEP_2)
	v_fma_f64 v[100:101], v[108:109], s[18:19], v[100:101]
	v_fma_f64 v[108:109], v[163:164], s[24:25], v[132:133]
	v_mul_f64_e32 v[104:105], s[24:25], v[100:101]
	v_mul_f64_e32 v[100:101], s[28:29], v[100:101]
	s_delay_alu instid0(VALU_DEP_3) | instskip(NEXT) | instid1(VALU_DEP_3)
	v_fma_f64 v[108:109], v[166:167], s[20:21], v[108:109]
	v_fma_f64 v[104:105], v[102:103], s[28:29], v[104:105]
	s_delay_alu instid0(VALU_DEP_3) | instskip(NEXT) | instid1(VALU_DEP_3)
	v_fma_f64 v[106:107], v[102:103], s[22:23], v[100:101]
	v_fma_f64 v[114:115], v[138:139], s[18:19], v[108:109]
	s_delay_alu instid0(VALU_DEP_3)
	v_add_f64_e32 v[100:101], v[2:3], v[104:105]
	v_add_f64_e64 v[104:105], v[2:3], -v[104:105]
	v_fma_f64 v[2:3], v[151:152], s[24:25], v[149:150]
	v_add_f64_e32 v[102:103], v[110:111], v[106:107]
	v_add_f64_e64 v[106:107], v[110:111], -v[106:107]
	v_fma_f64 v[110:111], v[155:156], s[22:23], v[144:145]
	s_delay_alu instid0(VALU_DEP_4) | instskip(NEXT) | instid1(VALU_DEP_2)
	v_fma_f64 v[2:3], v[153:154], s[20:21], v[2:3]
	v_fma_f64 v[110:111], v[157:158], s[16:17], v[110:111]
	s_delay_alu instid0(VALU_DEP_2) | instskip(NEXT) | instid1(VALU_DEP_2)
	v_fma_f64 v[2:3], v[142:143], s[18:19], v[2:3]
	v_fma_f64 v[108:109], v[140:141], s[18:19], v[110:111]
	s_delay_alu instid0(VALU_DEP_2) | instskip(SKIP_1) | instid1(VALU_DEP_2)
	v_mul_f64_e32 v[110:111], s[20:21], v[2:3]
	v_mul_f64_e32 v[2:3], s[30:31], v[2:3]
	v_fma_f64 v[112:113], v[108:109], s[30:31], v[110:111]
	s_delay_alu instid0(VALU_DEP_2) | instskip(NEXT) | instid1(VALU_DEP_2)
	v_fma_f64 v[2:3], v[108:109], s[16:17], v[2:3]
	v_add_f64_e32 v[108:109], v[0:1], v[112:113]
	s_delay_alu instid0(VALU_DEP_2)
	v_add_f64_e32 v[110:111], v[114:115], v[2:3]
	v_add_f64_e64 v[112:113], v[0:1], -v[112:113]
	v_add_f64_e64 v[114:115], v[114:115], -v[2:3]
	ds_load_b128 v[116:119], v148 offset:1440
	ds_load_b128 v[0:3], v148 offset:2880
	global_wb scope:SCOPE_SE
	s_wait_dscnt 0x0
	s_barrier_signal -1
	s_barrier_wait -1
	global_inv scope:SCOPE_SE
	scratch_load_b32 v120, off, off offset:1276 th:TH_LOAD_LU ; 4-byte Folded Reload
	s_wait_loadcnt 0x0
	ds_store_b128 v120, v[44:47]
	ds_store_b128 v120, v[8:11] offset:240
	ds_store_b128 v120, v[4:7] offset:48
	;; [unrolled: 1-line block ×9, first 2 shown]
	v_add_f64_e32 v[4:5], v[92:93], v[80:81]
	v_add_f64_e32 v[6:7], v[118:119], v[90:91]
	v_add_f64_e32 v[8:9], v[56:57], v[78:79]
	v_add_f64_e32 v[10:11], v[58:59], v[76:77]
	v_add_f64_e64 v[112:113], v[78:79], -v[70:71]
	v_add_f64_e64 v[114:115], v[94:95], -v[62:63]
	;; [unrolled: 1-line block ×3, first 2 shown]
	v_fma_f64 v[84:85], v[4:5], -0.5, v[116:117]
	v_add_f64_e32 v[4:5], v[88:89], v[72:73]
	v_add_f64_e32 v[6:7], v[6:7], v[66:67]
	;; [unrolled: 1-line block ×4, first 2 shown]
	s_delay_alu instid0(VALU_DEP_4) | instskip(SKIP_4) | instid1(VALU_DEP_4)
	v_fma_f64 v[86:87], v[4:5], -0.5, v[116:117]
	v_add_f64_e32 v[4:5], v[66:67], v[82:83]
	v_add_f64_e32 v[6:7], v[6:7], v[82:83]
	;; [unrolled: 1-line block ×4, first 2 shown]
	v_fma_f64 v[96:97], v[4:5], -0.5, v[118:119]
	v_add_f64_e32 v[4:5], v[90:91], v[74:75]
	v_add_f64_e32 v[14:15], v[6:7], v[74:75]
	;; [unrolled: 1-line block ×4, first 2 shown]
	s_delay_alu instid0(VALU_DEP_4) | instskip(SKIP_2) | instid1(VALU_DEP_4)
	v_fma_f64 v[98:99], v[4:5], -0.5, v[118:119]
	v_add_f64_e32 v[4:5], v[116:117], v[88:89]
	v_add_f64_e64 v[116:117], v[76:77], -v[68:69]
	v_add_f64_e32 v[6:7], v[14:15], v[10:11]
	v_add_f64_e64 v[10:11], v[14:15], -v[10:11]
	v_add_f64_e64 v[14:15], v[72:73], -v[80:81]
	;; [unrolled: 1-line block ×3, first 2 shown]
	v_add_f64_e32 v[4:5], v[4:5], v[92:93]
	s_delay_alu instid0(VALU_DEP_1) | instskip(NEXT) | instid1(VALU_DEP_1)
	v_add_f64_e32 v[4:5], v[4:5], v[80:81]
	v_add_f64_e32 v[12:13], v[4:5], v[72:73]
	v_add_f64_e64 v[72:73], v[80:81], -v[72:73]
	v_add_f64_e64 v[80:81], v[94:95], -v[78:79]
	s_delay_alu instid0(VALU_DEP_3) | instskip(SKIP_3) | instid1(VALU_DEP_2)
	v_add_f64_e32 v[4:5], v[12:13], v[8:9]
	v_add_f64_e64 v[8:9], v[12:13], -v[8:9]
	v_add_f64_e64 v[12:13], v[88:89], -v[92:93]
	;; [unrolled: 1-line block ×3, first 2 shown]
	v_add_f64_e32 v[100:101], v[12:13], v[14:15]
	v_add_f64_e64 v[12:13], v[90:91], -v[66:67]
	v_add_f64_e64 v[14:15], v[74:75], -v[82:83]
	;; [unrolled: 1-line block ×4, first 2 shown]
	s_delay_alu instid0(VALU_DEP_3) | instskip(SKIP_4) | instid1(VALU_DEP_3)
	v_add_f64_e32 v[102:103], v[12:13], v[14:15]
	v_add_f64_e64 v[12:13], v[78:79], -v[94:95]
	v_add_f64_e64 v[14:15], v[70:71], -v[62:63]
	v_add_f64_e32 v[78:79], v[78:79], v[70:71]
	v_add_f64_e32 v[66:67], v[66:67], v[74:75]
	;; [unrolled: 1-line block ×3, first 2 shown]
	v_add_f64_e64 v[12:13], v[76:77], -v[64:65]
	v_add_f64_e64 v[14:15], v[68:69], -v[60:61]
	s_delay_alu instid0(VALU_DEP_1) | instskip(SKIP_3) | instid1(VALU_DEP_3)
	v_add_f64_e32 v[106:107], v[12:13], v[14:15]
	v_add_f64_e32 v[12:13], v[94:95], v[62:63]
	v_add_f64_e64 v[62:63], v[62:63], -v[70:71]
	v_add_f64_e32 v[70:71], v[76:77], v[68:69]
	v_fma_f64 v[108:109], v[12:13], -0.5, v[56:57]
	v_add_f64_e32 v[12:13], v[64:65], v[60:61]
	v_add_f64_e64 v[60:61], v[60:61], -v[68:69]
	s_delay_alu instid0(VALU_DEP_4)
	v_fma_f64 v[68:69], v[70:71], -0.5, v[58:59]
	v_add_f64_e64 v[64:65], v[64:65], -v[76:77]
	v_add_f64_e32 v[70:71], v[88:89], v[72:73]
	v_fma_f64 v[72:73], v[78:79], -0.5, v[56:57]
	v_add_f64_e32 v[74:75], v[80:81], v[62:63]
	v_fma_f64 v[14:15], v[116:117], s[24:25], v[108:109]
	v_fma_f64 v[110:111], v[12:13], -0.5, v[58:59]
	v_fma_f64 v[56:57], v[114:115], s[24:25], v[68:69]
	v_add_f64_e32 v[64:65], v[64:65], v[60:61]
	v_fma_f64 v[58:59], v[118:119], s[22:23], v[72:73]
	v_fma_f64 v[14:15], v[118:119], s[20:21], v[14:15]
	;; [unrolled: 1-line block ×4, first 2 shown]
	s_delay_alu instid0(VALU_DEP_4) | instskip(NEXT) | instid1(VALU_DEP_4)
	v_fma_f64 v[58:59], v[116:117], s[20:21], v[58:59]
	v_fma_f64 v[14:15], v[104:105], s[18:19], v[14:15]
	s_delay_alu instid0(VALU_DEP_4) | instskip(NEXT) | instid1(VALU_DEP_4)
	v_fma_f64 v[12:13], v[114:115], s[16:17], v[12:13]
	v_fma_f64 v[56:57], v[64:65], s[18:19], v[56:57]
	s_delay_alu instid0(VALU_DEP_4) | instskip(NEXT) | instid1(VALU_DEP_3)
	v_fma_f64 v[58:59], v[74:75], s[18:19], v[58:59]
	v_fma_f64 v[12:13], v[106:107], s[18:19], v[12:13]
	s_delay_alu instid0(VALU_DEP_3) | instskip(SKIP_1) | instid1(VALU_DEP_3)
	v_mul_f64_e32 v[60:61], s[24:25], v[56:57]
	v_mul_f64_e32 v[56:57], s[18:19], v[56:57]
	;; [unrolled: 1-line block ×4, first 2 shown]
	s_delay_alu instid0(VALU_DEP_4) | instskip(NEXT) | instid1(VALU_DEP_4)
	v_fma_f64 v[60:61], v[58:59], s[18:19], v[60:61]
	v_fma_f64 v[62:63], v[58:59], s[22:23], v[56:57]
	;; [unrolled: 1-line block ×10, first 2 shown]
	s_delay_alu instid0(VALU_DEP_4) | instskip(NEXT) | instid1(VALU_DEP_4)
	v_fma_f64 v[12:13], v[122:123], s[20:21], v[12:13]
	v_fma_f64 v[14:15], v[126:127], s[16:17], v[14:15]
	s_delay_alu instid0(VALU_DEP_4) | instskip(NEXT) | instid1(VALU_DEP_4)
	v_fma_f64 v[76:77], v[70:71], s[18:19], v[56:57]
	v_fma_f64 v[78:79], v[66:67], s[18:19], v[58:59]
	;; [unrolled: 3-line block ×3, first 2 shown]
	s_delay_alu instid0(VALU_DEP_4)
	v_add_f64_e32 v[56:57], v[76:77], v[60:61]
	v_add_f64_e64 v[60:61], v[76:77], -v[60:61]
	v_fma_f64 v[76:77], v[122:123], s[24:25], v[86:87]
	v_add_f64_e32 v[58:59], v[78:79], v[62:63]
	v_add_f64_e64 v[62:63], v[78:79], -v[62:63]
	v_fma_f64 v[78:79], v[116:117], s[22:23], v[108:109]
	v_add_f64_e64 v[86:87], v[26:27], -v[42:43]
	v_add_f64_e32 v[12:13], v[128:129], v[44:45]
	v_add_f64_e32 v[14:15], v[130:131], v[46:47]
	v_add_f64_e64 v[44:45], v[128:129], -v[44:45]
	v_add_f64_e64 v[46:47], v[130:131], -v[46:47]
	v_fma_f64 v[76:77], v[120:121], s[16:17], v[76:77]
	v_fma_f64 v[78:79], v[118:119], s[16:17], v[78:79]
	s_delay_alu instid0(VALU_DEP_2) | instskip(SKIP_1) | instid1(VALU_DEP_1)
	v_fma_f64 v[70:71], v[70:71], s[18:19], v[76:77]
	v_fma_f64 v[76:77], v[126:127], s[22:23], v[98:99]
	v_fma_f64 v[76:77], v[124:125], s[20:21], v[76:77]
	s_delay_alu instid0(VALU_DEP_1) | instskip(SKIP_1) | instid1(VALU_DEP_1)
	v_fma_f64 v[76:77], v[66:67], s[18:19], v[76:77]
	v_fma_f64 v[66:67], v[114:115], s[22:23], v[68:69]
	;; [unrolled: 1-line block ×3, first 2 shown]
	s_delay_alu instid0(VALU_DEP_1) | instskip(SKIP_1) | instid1(VALU_DEP_2)
	v_fma_f64 v[64:65], v[64:65], s[18:19], v[66:67]
	v_fma_f64 v[66:67], v[118:119], s[24:25], v[72:73]
	v_mul_f64_e32 v[68:69], s[24:25], v[64:65]
	s_delay_alu instid0(VALU_DEP_2) | instskip(SKIP_1) | instid1(VALU_DEP_2)
	v_fma_f64 v[66:67], v[116:117], s[16:17], v[66:67]
	v_mul_f64_e32 v[64:65], s[28:29], v[64:65]
	v_fma_f64 v[66:67], v[74:75], s[18:19], v[66:67]
	v_fma_f64 v[74:75], v[120:121], s[22:23], v[84:85]
	v_add_f64_e64 v[84:85], v[50:51], -v[52:53]
	s_delay_alu instid0(VALU_DEP_3) | instskip(SKIP_1) | instid1(VALU_DEP_4)
	v_fma_f64 v[68:69], v[66:67], s[28:29], v[68:69]
	v_fma_f64 v[72:73], v[66:67], s[22:23], v[64:65]
	;; [unrolled: 1-line block ×3, first 2 shown]
	s_delay_alu instid0(VALU_DEP_3) | instskip(NEXT) | instid1(VALU_DEP_3)
	v_add_f64_e32 v[64:65], v[70:71], v[68:69]
	v_add_f64_e32 v[66:67], v[76:77], v[72:73]
	v_add_f64_e64 v[68:69], v[70:71], -v[68:69]
	v_add_f64_e64 v[70:71], v[76:77], -v[72:73]
	v_fma_f64 v[72:73], v[112:113], s[24:25], v[110:111]
	v_fma_f64 v[76:77], v[124:125], s[24:25], v[96:97]
	;; [unrolled: 1-line block ×4, first 2 shown]
	s_delay_alu instid0(VALU_DEP_4) | instskip(NEXT) | instid1(VALU_DEP_4)
	v_fma_f64 v[72:73], v[114:115], s[20:21], v[72:73]
	v_fma_f64 v[76:77], v[126:127], s[20:21], v[76:77]
	s_delay_alu instid0(VALU_DEP_2) | instskip(NEXT) | instid1(VALU_DEP_2)
	v_fma_f64 v[72:73], v[106:107], s[18:19], v[72:73]
	v_fma_f64 v[82:83], v[102:103], s[18:19], v[76:77]
	s_delay_alu instid0(VALU_DEP_2) | instskip(SKIP_1) | instid1(VALU_DEP_2)
	v_mul_f64_e32 v[76:77], s[20:21], v[72:73]
	v_mul_f64_e32 v[72:73], s[30:31], v[72:73]
	v_fma_f64 v[76:77], v[74:75], s[30:31], v[76:77]
	s_delay_alu instid0(VALU_DEP_2) | instskip(NEXT) | instid1(VALU_DEP_2)
	v_fma_f64 v[78:79], v[74:75], s[16:17], v[72:73]
	v_add_f64_e32 v[72:73], v[80:81], v[76:77]
	v_add_f64_e64 v[76:77], v[80:81], -v[76:77]
	scratch_load_b32 v80, off, off offset:1272 th:TH_LOAD_LU ; 4-byte Folded Reload
	v_add_f64_e32 v[74:75], v[82:83], v[78:79]
	v_add_f64_e64 v[78:79], v[82:83], -v[78:79]
	s_wait_loadcnt 0x0
	ds_store_b128 v80, v[4:7]
	ds_store_b128 v80, v[12:15] offset:48
	ds_store_b128 v80, v[56:59] offset:96
	;; [unrolled: 1-line block ×9, first 2 shown]
	v_add_f64_e32 v[4:5], v[26:27], v[42:43]
	v_add_f64_e32 v[6:7], v[32:33], v[24:25]
	v_add_f64_e64 v[76:77], v[24:25], -v[22:23]
	v_add_f64_e64 v[78:79], v[16:17], -v[18:19]
	;; [unrolled: 1-line block ×6, first 2 shown]
	v_fma_f64 v[44:45], v[4:5], -0.5, v[0:1]
	v_add_f64_e32 v[4:5], v[50:51], v[52:53]
	v_add_f64_e32 v[6:7], v[6:7], v[16:17]
	s_delay_alu instid0(VALU_DEP_2) | instskip(SKIP_2) | instid1(VALU_DEP_4)
	v_fma_f64 v[46:47], v[4:5], -0.5, v[0:1]
	v_add_f64_e32 v[4:5], v[36:37], v[30:31]
	v_add_f64_e32 v[0:1], v[0:1], v[50:51]
	;; [unrolled: 1-line block ×3, first 2 shown]
	s_delay_alu instid0(VALU_DEP_3) | instskip(SKIP_1) | instid1(VALU_DEP_4)
	v_fma_f64 v[56:57], v[4:5], -0.5, v[2:3]
	v_add_f64_e32 v[4:5], v[40:41], v[20:21]
	v_add_f64_e32 v[0:1], v[0:1], v[26:27]
	s_delay_alu instid0(VALU_DEP_4) | instskip(NEXT) | instid1(VALU_DEP_3)
	v_add_f64_e32 v[6:7], v[6:7], v[22:23]
	v_fma_f64 v[58:59], v[4:5], -0.5, v[2:3]
	v_add_f64_e32 v[2:3], v[2:3], v[40:41]
	v_add_f64_e32 v[4:5], v[48:49], v[34:35]
	;; [unrolled: 1-line block ×3, first 2 shown]
	s_delay_alu instid0(VALU_DEP_3) | instskip(NEXT) | instid1(VALU_DEP_3)
	v_add_f64_e32 v[2:3], v[2:3], v[36:37]
	v_add_f64_e32 v[4:5], v[4:5], v[38:39]
	s_delay_alu instid0(VALU_DEP_3) | instskip(NEXT) | instid1(VALU_DEP_3)
	v_add_f64_e32 v[8:9], v[0:1], v[52:53]
	v_add_f64_e32 v[2:3], v[2:3], v[30:31]
	s_delay_alu instid0(VALU_DEP_3) | instskip(NEXT) | instid1(VALU_DEP_2)
	v_add_f64_e32 v[4:5], v[4:5], v[28:29]
	v_add_f64_e32 v[10:11], v[2:3], v[20:21]
	s_delay_alu instid0(VALU_DEP_2) | instskip(NEXT) | instid1(VALU_DEP_2)
	v_add_f64_e32 v[4:5], v[4:5], v[54:55]
	v_add_f64_e32 v[2:3], v[10:11], v[6:7]
	s_delay_alu instid0(VALU_DEP_2)
	v_add_f64_e32 v[0:1], v[8:9], v[4:5]
	v_add_f64_e64 v[4:5], v[8:9], -v[4:5]
	v_add_f64_e64 v[6:7], v[10:11], -v[6:7]
	;; [unrolled: 1-line block ×6, first 2 shown]
	s_delay_alu instid0(VALU_DEP_3)
	v_add_f64_e32 v[60:61], v[8:9], v[10:11]
	v_add_f64_e64 v[8:9], v[40:41], -v[36:37]
	v_add_f64_e64 v[10:11], v[20:21], -v[30:31]
	v_add_f64_e64 v[20:21], v[30:31], -v[20:21]
	v_add_f64_e64 v[30:31], v[38:39], -v[34:35]
	v_add_f64_e64 v[36:37], v[36:37], -v[40:41]
	v_add_f64_e32 v[26:27], v[26:27], v[42:43]
	v_add_f64_e32 v[62:63], v[8:9], v[10:11]
	v_add_f64_e64 v[8:9], v[34:35], -v[38:39]
	v_add_f64_e64 v[10:11], v[54:55], -v[28:29]
	v_add_f64_e32 v[34:35], v[34:35], v[54:55]
	s_delay_alu instid0(VALU_DEP_2) | instskip(SKIP_2) | instid1(VALU_DEP_4)
	v_add_f64_e32 v[64:65], v[8:9], v[10:11]
	v_add_f64_e64 v[8:9], v[24:25], -v[16:17]
	v_add_f64_e64 v[10:11], v[22:23], -v[18:19]
	v_fma_f64 v[34:35], v[34:35], -0.5, v[48:49]
	s_delay_alu instid0(VALU_DEP_2) | instskip(SKIP_2) | instid1(VALU_DEP_2)
	v_add_f64_e32 v[66:67], v[8:9], v[10:11]
	v_add_f64_e32 v[8:9], v[38:39], v[28:29]
	v_add_f64_e64 v[28:29], v[28:29], -v[54:55]
	v_fma_f64 v[68:69], v[8:9], -0.5, v[48:49]
	v_add_f64_e32 v[8:9], v[16:17], v[18:19]
	v_add_f64_e64 v[16:17], v[16:17], -v[24:25]
	v_add_f64_e32 v[24:25], v[24:25], v[22:23]
	v_add_f64_e64 v[18:19], v[18:19], -v[22:23]
	v_add_f64_e32 v[28:29], v[30:31], v[28:29]
	v_fma_f64 v[10:11], v[76:77], s[24:25], v[68:69]
	v_fma_f64 v[70:71], v[8:9], -0.5, v[32:33]
	v_fma_f64 v[24:25], v[24:25], -0.5, v[32:33]
	v_add_f64_e32 v[30:31], v[16:17], v[18:19]
	v_fma_f64 v[18:19], v[78:79], s[22:23], v[34:35]
	v_add_f64_e32 v[32:33], v[36:37], v[20:21]
	v_fma_f64 v[10:11], v[78:79], s[20:21], v[10:11]
	v_fma_f64 v[8:9], v[72:73], s[22:23], v[70:71]
	;; [unrolled: 1-line block ×10, first 2 shown]
	s_delay_alu instid0(VALU_DEP_4) | instskip(NEXT) | instid1(VALU_DEP_4)
	v_fma_f64 v[8:9], v[66:67], s[18:19], v[8:9]
	v_fma_f64 v[16:17], v[30:31], s[18:19], v[16:17]
	s_delay_alu instid0(VALU_DEP_4) | instskip(NEXT) | instid1(VALU_DEP_3)
	v_fma_f64 v[24:25], v[30:31], s[18:19], v[24:25]
	v_mul_f64_e32 v[12:13], s[20:21], v[8:9]
	v_mul_f64_e32 v[8:9], s[26:27], v[8:9]
	s_delay_alu instid0(VALU_DEP_4) | instskip(SKIP_1) | instid1(VALU_DEP_4)
	v_mul_f64_e32 v[20:21], s[24:25], v[16:17]
	v_mul_f64_e32 v[16:17], s[18:19], v[16:17]
	v_fma_f64 v[12:13], v[10:11], s[26:27], v[12:13]
	s_delay_alu instid0(VALU_DEP_4) | instskip(NEXT) | instid1(VALU_DEP_4)
	v_fma_f64 v[14:15], v[10:11], s[16:17], v[8:9]
	v_fma_f64 v[20:21], v[18:19], s[18:19], v[20:21]
	s_delay_alu instid0(VALU_DEP_4) | instskip(SKIP_4) | instid1(VALU_DEP_4)
	v_fma_f64 v[22:23], v[18:19], s[22:23], v[16:17]
	v_fma_f64 v[16:17], v[82:83], s[22:23], v[46:47]
	;; [unrolled: 1-line block ×6, first 2 shown]
	s_delay_alu instid0(VALU_DEP_4) | instskip(NEXT) | instid1(VALU_DEP_4)
	v_fma_f64 v[18:19], v[84:85], s[16:17], v[18:19]
	v_fma_f64 v[8:9], v[82:83], s[20:21], v[8:9]
	s_delay_alu instid0(VALU_DEP_4) | instskip(NEXT) | instid1(VALU_DEP_4)
	v_fma_f64 v[10:11], v[86:87], s[16:17], v[10:11]
	v_fma_f64 v[36:37], v[26:27], s[18:19], v[16:17]
	s_delay_alu instid0(VALU_DEP_4) | instskip(NEXT) | instid1(VALU_DEP_4)
	v_fma_f64 v[38:39], v[32:33], s[18:19], v[18:19]
	v_fma_f64 v[88:89], v[60:61], s[18:19], v[8:9]
	s_delay_alu instid0(VALU_DEP_4) | instskip(NEXT) | instid1(VALU_DEP_4)
	v_fma_f64 v[90:91], v[62:63], s[18:19], v[10:11]
	v_add_f64_e32 v[16:17], v[36:37], v[20:21]
	v_add_f64_e64 v[20:21], v[36:37], -v[20:21]
	v_fma_f64 v[36:37], v[82:83], s[24:25], v[46:47]
	v_add_f64_e32 v[18:19], v[38:39], v[22:23]
	v_add_f64_e64 v[22:23], v[38:39], -v[22:23]
	v_fma_f64 v[38:39], v[76:77], s[22:23], v[68:69]
	v_add_f64_e32 v[8:9], v[88:89], v[12:13]
	v_add_f64_e32 v[10:11], v[90:91], v[14:15]
	v_add_f64_e64 v[12:13], v[88:89], -v[12:13]
	v_add_f64_e64 v[14:15], v[90:91], -v[14:15]
	v_fma_f64 v[36:37], v[80:81], s[16:17], v[36:37]
	v_fma_f64 v[38:39], v[78:79], s[16:17], v[38:39]
	s_delay_alu instid0(VALU_DEP_2) | instskip(SKIP_1) | instid1(VALU_DEP_1)
	v_fma_f64 v[36:37], v[26:27], s[18:19], v[36:37]
	v_fma_f64 v[26:27], v[86:87], s[22:23], v[58:59]
	v_fma_f64 v[26:27], v[84:85], s[20:21], v[26:27]
	s_delay_alu instid0(VALU_DEP_1) | instskip(SKIP_2) | instid1(VALU_DEP_2)
	v_fma_f64 v[32:33], v[32:33], s[18:19], v[26:27]
	v_fma_f64 v[26:27], v[78:79], s[24:25], v[34:35]
	;; [unrolled: 1-line block ×4, first 2 shown]
	s_delay_alu instid0(VALU_DEP_2) | instskip(NEXT) | instid1(VALU_DEP_2)
	v_fma_f64 v[34:35], v[82:83], s[16:17], v[34:35]
	v_fma_f64 v[26:27], v[28:29], s[18:19], v[26:27]
	v_mul_f64_e32 v[28:29], s[24:25], v[24:25]
	v_mul_f64_e32 v[24:25], s[28:29], v[24:25]
	s_delay_alu instid0(VALU_DEP_4) | instskip(SKIP_1) | instid1(VALU_DEP_4)
	v_fma_f64 v[40:41], v[60:61], s[18:19], v[34:35]
	v_fma_f64 v[34:35], v[64:65], s[18:19], v[38:39]
	;; [unrolled: 1-line block ×3, first 2 shown]
	s_delay_alu instid0(VALU_DEP_4) | instskip(NEXT) | instid1(VALU_DEP_2)
	v_fma_f64 v[30:31], v[26:27], s[22:23], v[24:25]
	v_add_f64_e32 v[24:25], v[36:37], v[28:29]
	s_delay_alu instid0(VALU_DEP_2) | instskip(SKIP_4) | instid1(VALU_DEP_3)
	v_add_f64_e32 v[26:27], v[32:33], v[30:31]
	v_add_f64_e64 v[30:31], v[32:33], -v[30:31]
	v_fma_f64 v[32:33], v[72:73], s[24:25], v[70:71]
	v_add_f64_e64 v[28:29], v[36:37], -v[28:29]
	v_fma_f64 v[36:37], v[84:85], s[24:25], v[56:57]
	v_fma_f64 v[32:33], v[74:75], s[20:21], v[32:33]
	s_delay_alu instid0(VALU_DEP_2) | instskip(NEXT) | instid1(VALU_DEP_2)
	v_fma_f64 v[36:37], v[86:87], s[20:21], v[36:37]
	v_fma_f64 v[32:33], v[66:67], s[18:19], v[32:33]
	s_delay_alu instid0(VALU_DEP_2) | instskip(NEXT) | instid1(VALU_DEP_2)
	v_fma_f64 v[42:43], v[62:63], s[18:19], v[36:37]
	v_mul_f64_e32 v[36:37], s[20:21], v[32:33]
	v_mul_f64_e32 v[32:33], s[30:31], v[32:33]
	s_delay_alu instid0(VALU_DEP_2) | instskip(NEXT) | instid1(VALU_DEP_2)
	v_fma_f64 v[36:37], v[34:35], s[30:31], v[36:37]
	v_fma_f64 v[38:39], v[34:35], s[16:17], v[32:33]
	s_delay_alu instid0(VALU_DEP_2) | instskip(NEXT) | instid1(VALU_DEP_2)
	v_add_f64_e32 v[32:33], v[40:41], v[36:37]
	v_add_f64_e32 v[34:35], v[42:43], v[38:39]
	v_add_f64_e64 v[36:37], v[40:41], -v[36:37]
	v_add_f64_e64 v[38:39], v[42:43], -v[38:39]
	ds_store_b128 v181, v[0:3]
	ds_store_b128 v181, v[8:11] offset:48
	ds_store_b128 v181, v[16:19] offset:96
	;; [unrolled: 1-line block ×9, first 2 shown]
	global_wb scope:SCOPE_SE
	s_wait_dscnt 0x0
	s_barrier_signal -1
	s_barrier_wait -1
	global_inv scope:SCOPE_SE
	ds_load_b128 v[0:3], v148 offset:4320
	ds_load_b128 v[4:7], v148 offset:5760
	s_wait_dscnt 0x1
	v_mul_f64_e32 v[8:9], v[210:211], v[2:3]
	s_delay_alu instid0(VALU_DEP_1) | instskip(SKIP_1) | instid1(VALU_DEP_1)
	v_fma_f64 v[92:93], v[208:209], v[0:1], v[8:9]
	v_mul_f64_e32 v[0:1], v[210:211], v[0:1]
	v_fma_f64 v[94:95], v[208:209], v[2:3], -v[0:1]
	ds_load_b128 v[0:3], v148 offset:8640
	ds_load_b128 v[8:11], v148 offset:7200
	s_wait_dscnt 0x1
	v_mul_f64_e32 v[12:13], v[238:239], v[2:3]
	s_delay_alu instid0(VALU_DEP_1) | instskip(SKIP_1) | instid1(VALU_DEP_1)
	v_fma_f64 v[96:97], v[236:237], v[0:1], v[12:13]
	v_mul_f64_e32 v[0:1], v[238:239], v[0:1]
	v_fma_f64 v[98:99], v[236:237], v[2:3], -v[0:1]
	;; [unrolled: 8-line block ×3, first 2 shown]
	ds_load_b128 v[0:3], v148 offset:17280
	ds_load_b128 v[28:31], v148 offset:15840
	scratch_load_b128 v[18:21], off, off offset:1240 th:TH_LOAD_LU ; 16-byte Folded Reload
	s_wait_loadcnt_dscnt 0x1
	v_mul_f64_e32 v[16:17], v[20:21], v[2:3]
	s_delay_alu instid0(VALU_DEP_1) | instskip(SKIP_1) | instid1(VALU_DEP_1)
	v_fma_f64 v[104:105], v[18:19], v[0:1], v[16:17]
	v_mul_f64_e32 v[0:1], v[20:21], v[0:1]
	v_fma_f64 v[106:107], v[18:19], v[2:3], -v[0:1]
	ds_load_b128 v[0:3], v148 offset:21600
	ds_load_b128 v[16:19], v148 offset:23040
	s_wait_dscnt 0x1
	v_mul_f64_e32 v[20:21], v[234:235], v[2:3]
	s_delay_alu instid0(VALU_DEP_1) | instskip(SKIP_1) | instid1(VALU_DEP_1)
	v_fma_f64 v[108:109], v[232:233], v[0:1], v[20:21]
	v_mul_f64_e32 v[0:1], v[234:235], v[0:1]
	v_fma_f64 v[110:111], v[232:233], v[2:3], -v[0:1]
	ds_load_b128 v[0:3], v148 offset:25920
	ds_load_b128 v[36:39], v148 offset:24480
	scratch_load_b128 v[22:25], off, off offset:1080 th:TH_LOAD_LU ; 16-byte Folded Reload
	s_wait_loadcnt_dscnt 0x1
	v_mul_f64_e32 v[20:21], v[24:25], v[2:3]
	s_delay_alu instid0(VALU_DEP_1) | instskip(SKIP_1) | instid1(VALU_DEP_2)
	v_fma_f64 v[112:113], v[22:23], v[0:1], v[20:21]
	v_mul_f64_e32 v[0:1], v[24:25], v[0:1]
	v_add_f64_e64 v[161:162], v[104:105], -v[112:113]
	s_delay_alu instid0(VALU_DEP_2)
	v_fma_f64 v[114:115], v[22:23], v[2:3], -v[0:1]
	ds_load_b128 v[0:3], v148 offset:30240
	ds_load_b128 v[20:23], v148 offset:31680
	scratch_load_b128 v[32:35], off, off offset:1128 th:TH_LOAD_LU ; 16-byte Folded Reload
	v_add_f64_e64 v[157:158], v[106:107], -v[114:115]
	s_wait_loadcnt_dscnt 0x1
	v_mul_f64_e32 v[24:25], v[34:35], v[2:3]
	s_delay_alu instid0(VALU_DEP_1) | instskip(SKIP_1) | instid1(VALU_DEP_2)
	v_fma_f64 v[116:117], v[32:33], v[0:1], v[24:25]
	v_mul_f64_e32 v[0:1], v[34:35], v[0:1]
	v_add_f64_e64 v[149:150], v[108:109], -v[116:117]
	s_delay_alu instid0(VALU_DEP_2)
	v_fma_f64 v[118:119], v[32:33], v[2:3], -v[0:1]
	ds_load_b128 v[0:3], v148 offset:34560
	ds_load_b128 v[44:47], v148 offset:33120
	scratch_load_b128 v[32:35], off, off offset:1064 th:TH_LOAD_LU ; 16-byte Folded Reload
	v_add_f64_e64 v[153:154], v[110:111], -v[118:119]
	;; [unrolled: 12-line block ×3, first 2 shown]
	s_wait_loadcnt_dscnt 0x1
	v_mul_f64_e32 v[32:33], v[42:43], v[2:3]
	s_delay_alu instid0(VALU_DEP_1) | instskip(SKIP_3) | instid1(VALU_DEP_2)
	v_fma_f64 v[124:125], v[40:41], v[0:1], v[32:33]
	scratch_load_b128 v[32:35], off, off offset:1112 th:TH_LOAD_LU ; 16-byte Folded Reload
	v_mul_f64_e32 v[0:1], v[42:43], v[0:1]
	v_add_f64_e64 v[144:145], v[100:101], -v[124:125]
	v_fma_f64 v[126:127], v[40:41], v[2:3], -v[0:1]
	s_delay_alu instid0(VALU_DEP_1) | instskip(SKIP_2) | instid1(VALU_DEP_1)
	v_add_f64_e64 v[151:152], v[102:103], -v[126:127]
	s_wait_loadcnt 0x0
	v_mul_f64_e32 v[0:1], v[34:35], v[6:7]
	v_fma_f64 v[52:53], v[32:33], v[4:5], v[0:1]
	v_mul_f64_e32 v[0:1], v[34:35], v[4:5]
	s_delay_alu instid0(VALU_DEP_1)
	v_fma_f64 v[54:55], v[32:33], v[6:7], -v[0:1]
	ds_load_b128 v[0:3], v148 offset:10080
	ds_load_b128 v[4:7], v148 offset:11520
	scratch_load_b128 v[40:43], off, off offset:1144 th:TH_LOAD_LU ; 16-byte Folded Reload
	s_wait_loadcnt_dscnt 0x1
	v_mul_f64_e32 v[32:33], v[42:43], v[2:3]
	s_delay_alu instid0(VALU_DEP_1) | instskip(SKIP_2) | instid1(VALU_DEP_1)
	v_fma_f64 v[60:61], v[40:41], v[0:1], v[32:33]
	scratch_load_b128 v[32:35], off, off offset:1160 th:TH_LOAD_LU ; 16-byte Folded Reload
	v_mul_f64_e32 v[0:1], v[42:43], v[0:1]
	v_fma_f64 v[62:63], v[40:41], v[2:3], -v[0:1]
	s_wait_loadcnt 0x0
	v_mul_f64_e32 v[0:1], v[34:35], v[14:15]
	s_delay_alu instid0(VALU_DEP_1) | instskip(SKIP_1) | instid1(VALU_DEP_1)
	v_fma_f64 v[58:59], v[32:33], v[12:13], v[0:1]
	v_mul_f64_e32 v[0:1], v[34:35], v[12:13]
	v_fma_f64 v[56:57], v[32:33], v[14:15], -v[0:1]
	ds_load_b128 v[0:3], v148 offset:18720
	ds_load_b128 v[12:15], v148 offset:20160
	scratch_load_b128 v[40:43], off, off offset:1176 th:TH_LOAD_LU ; 16-byte Folded Reload
	s_wait_loadcnt_dscnt 0x1
	v_mul_f64_e32 v[32:33], v[42:43], v[2:3]
	s_delay_alu instid0(VALU_DEP_1) | instskip(SKIP_2) | instid1(VALU_DEP_1)
	v_fma_f64 v[66:67], v[40:41], v[0:1], v[32:33]
	scratch_load_b128 v[32:35], off, off offset:1208 th:TH_LOAD_LU ; 16-byte Folded Reload
	v_mul_f64_e32 v[0:1], v[42:43], v[0:1]
	v_fma_f64 v[68:69], v[40:41], v[2:3], -v[0:1]
	s_wait_loadcnt 0x0
	v_mul_f64_e32 v[0:1], v[34:35], v[18:19]
	s_delay_alu instid0(VALU_DEP_1) | instskip(SKIP_1) | instid1(VALU_DEP_1)
	v_fma_f64 v[70:71], v[32:33], v[16:17], v[0:1]
	v_mul_f64_e32 v[0:1], v[34:35], v[16:17]
	;; [unrolled: 16-line block ×3, first 2 shown]
	v_fma_f64 v[72:73], v[16:17], v[22:23], -v[0:1]
	ds_load_b128 v[0:3], v148 offset:36000
	ds_load_b128 v[88:91], v148 offset:37440
	scratch_load_b128 v[18:21], off, off offset:1192 th:TH_LOAD_LU ; 16-byte Folded Reload
	s_wait_loadcnt_dscnt 0x1
	v_mul_f64_e32 v[16:17], v[20:21], v[2:3]
	s_delay_alu instid0(VALU_DEP_1) | instskip(SKIP_1) | instid1(VALU_DEP_1)
	v_fma_f64 v[84:85], v[18:19], v[0:1], v[16:17]
	v_mul_f64_e32 v[0:1], v[20:21], v[0:1]
	v_fma_f64 v[86:87], v[18:19], v[2:3], -v[0:1]
	scratch_load_b128 v[16:19], off, off offset:1224 th:TH_LOAD_LU ; 16-byte Folded Reload
	s_wait_loadcnt 0x0
	v_mul_f64_e32 v[0:1], v[18:19], v[26:27]
	s_delay_alu instid0(VALU_DEP_1) | instskip(SKIP_1) | instid1(VALU_DEP_1)
	v_fma_f64 v[82:83], v[16:17], v[24:25], v[0:1]
	v_mul_f64_e32 v[0:1], v[18:19], v[24:25]
	v_fma_f64 v[80:81], v[16:17], v[26:27], -v[0:1]
	v_mul_f64_e32 v[0:1], v[214:215], v[10:11]
	s_delay_alu instid0(VALU_DEP_1) | instskip(SKIP_1) | instid1(VALU_DEP_1)
	v_fma_f64 v[16:17], v[212:213], v[8:9], v[0:1]
	v_mul_f64_e32 v[0:1], v[214:215], v[8:9]
	v_fma_f64 v[18:19], v[212:213], v[10:11], -v[0:1]
	v_mul_f64_e32 v[0:1], v[230:231], v[6:7]
	v_add_f64_e32 v[10:11], v[94:95], v[102:103]
	s_delay_alu instid0(VALU_DEP_2) | instskip(SKIP_1) | instid1(VALU_DEP_3)
	v_fma_f64 v[24:25], v[228:229], v[4:5], v[0:1]
	v_mul_f64_e32 v[0:1], v[230:231], v[4:5]
	v_add_f64_e32 v[10:11], v[10:11], v[110:111]
	s_delay_alu instid0(VALU_DEP_2) | instskip(SKIP_1) | instid1(VALU_DEP_3)
	v_fma_f64 v[26:27], v[228:229], v[6:7], -v[0:1]
	v_mul_f64_e32 v[0:1], v[196:197], v[30:31]
	v_add_f64_e32 v[10:11], v[10:11], v[118:119]
	s_delay_alu instid0(VALU_DEP_2) | instskip(SKIP_1) | instid1(VALU_DEP_3)
	v_fma_f64 v[22:23], v[194:195], v[28:29], v[0:1]
	v_mul_f64_e32 v[0:1], v[196:197], v[28:29]
	v_add_f64_e32 v[10:11], v[10:11], v[126:127]
	s_delay_alu instid0(VALU_DEP_2) | instskip(SKIP_1) | instid1(VALU_DEP_1)
	v_fma_f64 v[20:21], v[194:195], v[30:31], -v[0:1]
	v_mul_f64_e32 v[0:1], v[222:223], v[14:15]
	v_fma_f64 v[30:31], v[220:221], v[12:13], v[0:1]
	v_mul_f64_e32 v[0:1], v[222:223], v[12:13]
	s_delay_alu instid0(VALU_DEP_1) | instskip(SKIP_1) | instid1(VALU_DEP_1)
	v_fma_f64 v[32:33], v[220:221], v[14:15], -v[0:1]
	v_mul_f64_e32 v[0:1], v[188:189], v[38:39]
	v_fma_f64 v[34:35], v[186:187], v[36:37], v[0:1]
	v_mul_f64_e32 v[0:1], v[188:189], v[36:37]
	s_delay_alu instid0(VALU_DEP_1) | instskip(SKIP_1) | instid1(VALU_DEP_1)
	;; [unrolled: 5-line block ×3, first 2 shown]
	v_fma_f64 v[42:43], v[204:205], v[50:51], -v[0:1]
	v_mul_f64_e32 v[0:1], v[184:185], v[46:47]
	v_fma_f64 v[38:39], v[182:183], v[44:45], v[0:1]
	v_mul_f64_e32 v[0:1], v[184:185], v[44:45]
	s_delay_alu instid0(VALU_DEP_1) | instskip(SKIP_2) | instid1(VALU_DEP_1)
	v_fma_f64 v[36:37], v[182:183], v[46:47], -v[0:1]
	s_wait_dscnt 0x0
	v_mul_f64_e32 v[0:1], v[192:193], v[90:91]
	v_fma_f64 v[44:45], v[190:191], v[88:89], v[0:1]
	v_mul_f64_e32 v[0:1], v[192:193], v[88:89]
	s_delay_alu instid0(VALU_DEP_1) | instskip(SKIP_4) | instid1(VALU_DEP_1)
	v_fma_f64 v[46:47], v[190:191], v[90:91], -v[0:1]
	ds_load_b128 v[0:3], v148 offset:41760
	ds_load_b128 v[4:7], v148
	s_wait_dscnt 0x1
	v_mul_f64_e32 v[8:9], v[226:227], v[2:3]
	v_fma_f64 v[50:51], v[224:225], v[0:1], v[8:9]
	v_mul_f64_e32 v[0:1], v[226:227], v[0:1]
	v_add_f64_e32 v[8:9], v[106:107], v[114:115]
	s_delay_alu instid0(VALU_DEP_2) | instskip(SKIP_3) | instid1(VALU_DEP_4)
	v_fma_f64 v[48:49], v[224:225], v[2:3], -v[0:1]
	v_add_f64_e32 v[0:1], v[104:105], v[112:113]
	v_add_f64_e32 v[2:3], v[96:97], v[120:121]
	s_wait_dscnt 0x0
	v_fma_f64 v[128:129], v[8:9], -0.5, v[6:7]
	v_add_f64_e32 v[8:9], v[98:99], v[122:123]
	s_delay_alu instid0(VALU_DEP_4) | instskip(NEXT) | instid1(VALU_DEP_4)
	v_fma_f64 v[0:1], v[0:1], -0.5, v[4:5]
	v_fma_f64 v[2:3], v[2:3], -0.5, v[4:5]
	v_add_f64_e32 v[4:5], v[4:5], v[96:97]
	s_delay_alu instid0(VALU_DEP_4) | instskip(SKIP_2) | instid1(VALU_DEP_4)
	v_fma_f64 v[130:131], v[8:9], -0.5, v[6:7]
	v_add_f64_e32 v[6:7], v[6:7], v[98:99]
	v_add_f64_e32 v[8:9], v[92:93], v[100:101]
	;; [unrolled: 1-line block ×3, first 2 shown]
	s_delay_alu instid0(VALU_DEP_3) | instskip(NEXT) | instid1(VALU_DEP_3)
	v_add_f64_e32 v[6:7], v[6:7], v[106:107]
	v_add_f64_e32 v[8:9], v[8:9], v[108:109]
	s_delay_alu instid0(VALU_DEP_3) | instskip(NEXT) | instid1(VALU_DEP_3)
	v_add_f64_e32 v[4:5], v[4:5], v[112:113]
	v_add_f64_e32 v[6:7], v[6:7], v[114:115]
	;; [unrolled: 3-line block ×4, first 2 shown]
	s_delay_alu instid0(VALU_DEP_2) | instskip(NEXT) | instid1(VALU_DEP_2)
	v_add_f64_e32 v[90:91], v[6:7], v[10:11]
	v_add_f64_e32 v[88:89], v[4:5], v[8:9]
	v_add_f64_e64 v[8:9], v[4:5], -v[8:9]
	v_add_f64_e64 v[10:11], v[6:7], -v[10:11]
	;; [unrolled: 1-line block ×8, first 2 shown]
	v_add_f64_e32 v[132:133], v[4:5], v[6:7]
	v_add_f64_e64 v[4:5], v[98:99], -v[106:107]
	v_add_f64_e64 v[6:7], v[122:123], -v[114:115]
	;; [unrolled: 1-line block ×5, first 2 shown]
	v_add_f64_e32 v[104:105], v[96:97], v[104:105]
	v_add_f64_e64 v[122:123], v[68:69], -v[78:79]
	v_add_f64_e32 v[134:135], v[4:5], v[6:7]
	v_add_f64_e64 v[4:5], v[100:101], -v[108:109]
	v_add_f64_e64 v[6:7], v[124:125], -v[116:117]
	v_add_f64_e32 v[106:107], v[98:99], v[106:107]
	s_delay_alu instid0(VALU_DEP_2) | instskip(SKIP_2) | instid1(VALU_DEP_1)
	v_add_f64_e32 v[136:137], v[4:5], v[6:7]
	v_add_f64_e64 v[4:5], v[102:103], -v[110:111]
	v_add_f64_e64 v[6:7], v[126:127], -v[118:119]
	v_add_f64_e32 v[138:139], v[4:5], v[6:7]
	v_add_f64_e32 v[4:5], v[108:109], v[116:117]
	v_add_f64_e64 v[108:109], v[108:109], -v[100:101]
	v_add_f64_e32 v[100:101], v[100:101], v[124:125]
	v_add_f64_e64 v[124:125], v[60:61], -v[84:85]
	s_delay_alu instid0(VALU_DEP_4)
	v_fma_f64 v[140:141], v[4:5], -0.5, v[92:93]
	v_add_f64_e32 v[4:5], v[110:111], v[118:119]
	v_add_f64_e64 v[110:111], v[110:111], -v[102:103]
	v_add_f64_e32 v[102:103], v[102:103], v[126:127]
	v_fma_f64 v[100:101], v[100:101], -0.5, v[92:93]
	v_add_f64_e32 v[108:109], v[108:109], v[112:113]
	v_add_f64_e64 v[126:127], v[66:67], -v[76:77]
	v_fma_f64 v[6:7], v[151:152], s[24:25], v[140:141]
	v_fma_f64 v[142:143], v[4:5], -0.5, v[94:95]
	v_add_f64_e32 v[110:111], v[110:111], v[114:115]
	v_fma_f64 v[102:103], v[102:103], -0.5, v[94:95]
	v_fma_f64 v[94:95], v[153:154], s[22:23], v[100:101]
	v_fma_f64 v[100:101], v[153:154], s[24:25], v[100:101]
	;; [unrolled: 1-line block ×16, first 2 shown]
	s_delay_alu instid0(VALU_DEP_4) | instskip(SKIP_1) | instid1(VALU_DEP_4)
	v_fma_f64 v[102:103], v[110:111], s[18:19], v[102:103]
	v_fma_f64 v[110:111], v[151:152], s[22:23], v[140:141]
	v_mul_f64_e32 v[12:13], s[20:21], v[4:5]
	v_mul_f64_e32 v[4:5], s[26:27], v[4:5]
	;; [unrolled: 1-line block ×4, first 2 shown]
	v_fma_f64 v[110:111], v[153:154], s[16:17], v[110:111]
	v_fma_f64 v[12:13], v[6:7], s[26:27], v[12:13]
	;; [unrolled: 1-line block ×24, first 2 shown]
	v_add_f64_e32 v[92:93], v[112:113], v[96:97]
	v_add_f64_e64 v[96:97], v[112:113], -v[96:97]
	v_fma_f64 v[104:105], v[159:160], s[20:21], v[104:105]
	v_add_f64_e32 v[94:95], v[114:115], v[98:99]
	v_add_f64_e64 v[98:99], v[114:115], -v[98:99]
	v_add_f64_e32 v[4:5], v[163:164], v[12:13]
	v_add_f64_e32 v[6:7], v[166:167], v[14:15]
	v_add_f64_e64 v[12:13], v[163:164], -v[12:13]
	v_add_f64_e64 v[14:15], v[166:167], -v[14:15]
	v_fma_f64 v[106:107], v[106:107], s[18:19], v[104:105]
	v_mul_f64_e32 v[104:105], s[24:25], v[102:103]
	v_mul_f64_e32 v[102:103], s[28:29], v[102:103]
	s_delay_alu instid0(VALU_DEP_2) | instskip(NEXT) | instid1(VALU_DEP_2)
	v_fma_f64 v[104:105], v[100:101], s[28:29], v[104:105]
	v_fma_f64 v[108:109], v[100:101], s[22:23], v[102:103]
	s_delay_alu instid0(VALU_DEP_2) | instskip(SKIP_2) | instid1(VALU_DEP_4)
	v_add_f64_e32 v[100:101], v[2:3], v[104:105]
	v_add_f64_e64 v[104:105], v[2:3], -v[104:105]
	v_fma_f64 v[2:3], v[144:145], s[24:25], v[142:143]
	v_add_f64_e32 v[102:103], v[106:107], v[108:109]
	v_add_f64_e64 v[106:107], v[106:107], -v[108:109]
	v_fma_f64 v[108:109], v[159:160], s[24:25], v[128:129]
	s_delay_alu instid0(VALU_DEP_4) | instskip(NEXT) | instid1(VALU_DEP_2)
	v_fma_f64 v[2:3], v[149:150], s[20:21], v[2:3]
	v_fma_f64 v[108:109], v[161:162], s[20:21], v[108:109]
	s_delay_alu instid0(VALU_DEP_2) | instskip(NEXT) | instid1(VALU_DEP_2)
	v_fma_f64 v[2:3], v[138:139], s[18:19], v[2:3]
	v_fma_f64 v[114:115], v[134:135], s[18:19], v[108:109]
	v_fma_f64 v[108:109], v[136:137], s[18:19], v[110:111]
	s_delay_alu instid0(VALU_DEP_3) | instskip(SKIP_1) | instid1(VALU_DEP_2)
	v_mul_f64_e32 v[110:111], s[20:21], v[2:3]
	v_mul_f64_e32 v[2:3], s[30:31], v[2:3]
	v_fma_f64 v[112:113], v[108:109], s[30:31], v[110:111]
	s_delay_alu instid0(VALU_DEP_2) | instskip(NEXT) | instid1(VALU_DEP_2)
	v_fma_f64 v[2:3], v[108:109], s[16:17], v[2:3]
	v_add_f64_e32 v[108:109], v[0:1], v[112:113]
	s_delay_alu instid0(VALU_DEP_2)
	v_add_f64_e32 v[110:111], v[114:115], v[2:3]
	v_add_f64_e64 v[112:113], v[0:1], -v[112:113]
	v_add_f64_e64 v[114:115], v[114:115], -v[2:3]
	ds_load_b128 v[116:119], v148 offset:1440
	ds_load_b128 v[0:3], v148 offset:2880
	global_wb scope:SCOPE_SE
	s_wait_dscnt 0x0
	s_barrier_signal -1
	s_barrier_wait -1
	global_inv scope:SCOPE_SE
	ds_store_b128 v165, v[88:91]
	ds_store_b128 v165, v[8:11] offset:2400
	ds_store_b128 v165, v[4:7] offset:480
	;; [unrolled: 1-line block ×9, first 2 shown]
	v_add_f64_e32 v[4:5], v[66:67], v[76:77]
	v_add_f64_e32 v[6:7], v[118:119], v[62:63]
	;; [unrolled: 1-line block ×4, first 2 shown]
	v_add_f64_e64 v[112:113], v[58:59], -v[82:83]
	v_add_f64_e64 v[114:115], v[70:71], -v[74:75]
	v_fma_f64 v[92:93], v[4:5], -0.5, v[116:117]
	v_add_f64_e32 v[4:5], v[60:61], v[84:85]
	v_add_f64_e32 v[6:7], v[6:7], v[68:69]
	;; [unrolled: 1-line block ×4, first 2 shown]
	s_delay_alu instid0(VALU_DEP_4) | instskip(SKIP_4) | instid1(VALU_DEP_4)
	v_fma_f64 v[94:95], v[4:5], -0.5, v[116:117]
	v_add_f64_e32 v[4:5], v[68:69], v[78:79]
	v_add_f64_e32 v[6:7], v[6:7], v[78:79]
	;; [unrolled: 1-line block ×4, first 2 shown]
	v_fma_f64 v[96:97], v[4:5], -0.5, v[118:119]
	v_add_f64_e32 v[4:5], v[62:63], v[86:87]
	v_add_f64_e32 v[14:15], v[6:7], v[86:87]
	;; [unrolled: 1-line block ×4, first 2 shown]
	s_delay_alu instid0(VALU_DEP_4) | instskip(SKIP_2) | instid1(VALU_DEP_4)
	v_fma_f64 v[98:99], v[4:5], -0.5, v[118:119]
	v_add_f64_e32 v[4:5], v[116:117], v[60:61]
	v_add_f64_e64 v[116:117], v[56:57], -v[80:81]
	v_add_f64_e32 v[6:7], v[14:15], v[10:11]
	v_add_f64_e64 v[10:11], v[14:15], -v[10:11]
	v_add_f64_e64 v[14:15], v[84:85], -v[76:77]
	;; [unrolled: 1-line block ×3, first 2 shown]
	v_add_f64_e32 v[4:5], v[4:5], v[66:67]
	s_delay_alu instid0(VALU_DEP_1) | instskip(NEXT) | instid1(VALU_DEP_1)
	v_add_f64_e32 v[4:5], v[4:5], v[76:77]
	v_add_f64_e32 v[12:13], v[4:5], v[84:85]
	s_delay_alu instid0(VALU_DEP_1)
	v_add_f64_e32 v[4:5], v[12:13], v[8:9]
	v_add_f64_e64 v[8:9], v[12:13], -v[8:9]
	v_add_f64_e64 v[12:13], v[60:61], -v[66:67]
	;; [unrolled: 1-line block ×5, first 2 shown]
	s_delay_alu instid0(VALU_DEP_4)
	v_add_f64_e32 v[100:101], v[12:13], v[14:15]
	v_add_f64_e64 v[12:13], v[62:63], -v[68:69]
	v_add_f64_e64 v[14:15], v[86:87], -v[78:79]
	v_add_f64_e32 v[60:61], v[60:61], v[66:67]
	v_add_f64_e64 v[62:63], v[68:69], -v[62:63]
	v_add_f64_e64 v[68:69], v[78:79], -v[86:87]
	;; [unrolled: 1-line block ×3, first 2 shown]
	v_add_f64_e32 v[102:103], v[12:13], v[14:15]
	v_add_f64_e64 v[12:13], v[58:59], -v[70:71]
	v_add_f64_e64 v[14:15], v[82:83], -v[74:75]
	v_add_f64_e32 v[62:63], v[62:63], v[68:69]
	s_delay_alu instid0(VALU_DEP_2) | instskip(SKIP_2) | instid1(VALU_DEP_1)
	v_add_f64_e32 v[104:105], v[12:13], v[14:15]
	v_add_f64_e64 v[12:13], v[56:57], -v[64:65]
	v_add_f64_e64 v[14:15], v[80:81], -v[72:73]
	v_add_f64_e32 v[106:107], v[12:13], v[14:15]
	v_add_f64_e32 v[12:13], v[70:71], v[74:75]
	v_add_f64_e64 v[70:71], v[70:71], -v[58:59]
	v_add_f64_e32 v[58:59], v[58:59], v[82:83]
	v_add_f64_e64 v[74:75], v[74:75], -v[82:83]
	v_add_f64_e64 v[82:83], v[32:33], -v[42:43]
	v_fma_f64 v[108:109], v[12:13], -0.5, v[52:53]
	v_add_f64_e32 v[12:13], v[64:65], v[72:73]
	v_add_f64_e64 v[64:65], v[64:65], -v[56:57]
	v_add_f64_e32 v[56:57], v[56:57], v[80:81]
	v_add_f64_e64 v[72:73], v[72:73], -v[80:81]
	v_fma_f64 v[66:67], v[58:59], -0.5, v[52:53]
	v_add_f64_e32 v[68:69], v[70:71], v[74:75]
	v_add_f64_e64 v[80:81], v[26:27], -v[46:47]
	v_fma_f64 v[14:15], v[116:117], s[24:25], v[108:109]
	v_fma_f64 v[110:111], v[12:13], -0.5, v[54:55]
	v_fma_f64 v[74:75], v[116:117], s[22:23], v[108:109]
	v_fma_f64 v[76:77], v[56:57], -0.5, v[54:55]
	v_add_f64_e32 v[64:65], v[64:65], v[72:73]
	v_fma_f64 v[54:55], v[118:119], s[22:23], v[66:67]
	v_fma_f64 v[14:15], v[118:119], s[20:21], v[14:15]
	;; [unrolled: 1-line block ×8, first 2 shown]
	s_delay_alu instid0(VALU_DEP_4) | instskip(NEXT) | instid1(VALU_DEP_4)
	v_fma_f64 v[52:53], v[112:113], s[16:17], v[52:53]
	v_fma_f64 v[54:55], v[68:69], s[18:19], v[54:55]
	s_delay_alu instid0(VALU_DEP_3) | instskip(NEXT) | instid1(VALU_DEP_3)
	v_fma_f64 v[12:13], v[106:107], s[18:19], v[12:13]
	v_fma_f64 v[52:53], v[64:65], s[18:19], v[52:53]
	s_delay_alu instid0(VALU_DEP_2) | instskip(SKIP_1) | instid1(VALU_DEP_3)
	v_mul_f64_e32 v[88:89], s[20:21], v[12:13]
	v_mul_f64_e32 v[12:13], s[26:27], v[12:13]
	v_mul_f64_e32 v[56:57], s[24:25], v[52:53]
	v_mul_f64_e32 v[52:53], s[18:19], v[52:53]
	s_delay_alu instid0(VALU_DEP_4) | instskip(NEXT) | instid1(VALU_DEP_4)
	v_fma_f64 v[88:89], v[14:15], s[26:27], v[88:89]
	v_fma_f64 v[90:91], v[14:15], s[16:17], v[12:13]
	s_delay_alu instid0(VALU_DEP_4) | instskip(NEXT) | instid1(VALU_DEP_4)
	v_fma_f64 v[56:57], v[54:55], s[18:19], v[56:57]
	v_fma_f64 v[58:59], v[54:55], s[22:23], v[52:53]
	;; [unrolled: 1-line block ×6, first 2 shown]
	s_delay_alu instid0(VALU_DEP_4) | instskip(NEXT) | instid1(VALU_DEP_4)
	v_fma_f64 v[52:53], v[120:121], s[20:21], v[52:53]
	v_fma_f64 v[54:55], v[124:125], s[16:17], v[54:55]
	s_delay_alu instid0(VALU_DEP_4) | instskip(NEXT) | instid1(VALU_DEP_4)
	v_fma_f64 v[12:13], v[122:123], s[20:21], v[12:13]
	v_fma_f64 v[14:15], v[126:127], s[16:17], v[14:15]
	s_delay_alu instid0(VALU_DEP_4) | instskip(NEXT) | instid1(VALU_DEP_4)
	v_fma_f64 v[70:71], v[60:61], s[18:19], v[52:53]
	v_fma_f64 v[72:73], v[62:63], s[18:19], v[54:55]
	s_delay_alu instid0(VALU_DEP_4) | instskip(NEXT) | instid1(VALU_DEP_4)
	v_fma_f64 v[128:129], v[100:101], s[18:19], v[12:13]
	v_fma_f64 v[130:131], v[102:103], s[18:19], v[14:15]
	s_delay_alu instid0(VALU_DEP_4)
	v_add_f64_e32 v[52:53], v[70:71], v[56:57]
	v_add_f64_e64 v[56:57], v[70:71], -v[56:57]
	v_fma_f64 v[70:71], v[122:123], s[24:25], v[94:95]
	v_add_f64_e32 v[54:55], v[72:73], v[58:59]
	v_add_f64_e64 v[58:59], v[72:73], -v[58:59]
	v_add_f64_e32 v[12:13], v[128:129], v[88:89]
	v_add_f64_e32 v[14:15], v[130:131], v[90:91]
	v_add_f64_e64 v[88:89], v[128:129], -v[88:89]
	v_add_f64_e64 v[90:91], v[130:131], -v[90:91]
	v_fma_f64 v[70:71], v[120:121], s[16:17], v[70:71]
	s_delay_alu instid0(VALU_DEP_1) | instskip(SKIP_1) | instid1(VALU_DEP_1)
	v_fma_f64 v[70:71], v[60:61], s[18:19], v[70:71]
	v_fma_f64 v[60:61], v[126:127], s[22:23], v[98:99]
	;; [unrolled: 1-line block ×3, first 2 shown]
	s_delay_alu instid0(VALU_DEP_1) | instskip(SKIP_2) | instid1(VALU_DEP_2)
	v_fma_f64 v[72:73], v[62:63], s[18:19], v[60:61]
	v_fma_f64 v[60:61], v[114:115], s[22:23], v[76:77]
	;; [unrolled: 1-line block ×4, first 2 shown]
	s_delay_alu instid0(VALU_DEP_2) | instskip(NEXT) | instid1(VALU_DEP_2)
	v_fma_f64 v[62:63], v[116:117], s[16:17], v[62:63]
	v_fma_f64 v[60:61], v[64:65], s[18:19], v[60:61]
	s_delay_alu instid0(VALU_DEP_2) | instskip(SKIP_1) | instid1(VALU_DEP_3)
	v_fma_f64 v[62:63], v[68:69], s[18:19], v[62:63]
	v_fma_f64 v[68:69], v[112:113], s[24:25], v[110:111]
	v_mul_f64_e32 v[64:65], s[24:25], v[60:61]
	v_mul_f64_e32 v[60:61], s[28:29], v[60:61]
	s_delay_alu instid0(VALU_DEP_3) | instskip(NEXT) | instid1(VALU_DEP_3)
	v_fma_f64 v[68:69], v[114:115], s[20:21], v[68:69]
	v_fma_f64 v[64:65], v[62:63], s[28:29], v[64:65]
	s_delay_alu instid0(VALU_DEP_3) | instskip(NEXT) | instid1(VALU_DEP_3)
	v_fma_f64 v[66:67], v[62:63], s[22:23], v[60:61]
	v_fma_f64 v[68:69], v[106:107], s[18:19], v[68:69]
	s_delay_alu instid0(VALU_DEP_3) | instskip(NEXT) | instid1(VALU_DEP_3)
	v_add_f64_e32 v[60:61], v[70:71], v[64:65]
	v_add_f64_e32 v[62:63], v[72:73], v[66:67]
	v_add_f64_e64 v[64:65], v[70:71], -v[64:65]
	v_add_f64_e64 v[66:67], v[72:73], -v[66:67]
	v_fma_f64 v[70:71], v[120:121], s[22:23], v[92:93]
	v_fma_f64 v[72:73], v[124:125], s[24:25], v[96:97]
	s_delay_alu instid0(VALU_DEP_2) | instskip(NEXT) | instid1(VALU_DEP_2)
	v_fma_f64 v[70:71], v[122:123], s[16:17], v[70:71]
	v_fma_f64 v[72:73], v[126:127], s[20:21], v[72:73]
	s_delay_alu instid0(VALU_DEP_2) | instskip(NEXT) | instid1(VALU_DEP_2)
	v_fma_f64 v[76:77], v[100:101], s[18:19], v[70:71]
	v_fma_f64 v[78:79], v[102:103], s[18:19], v[72:73]
	;; [unrolled: 1-line block ×3, first 2 shown]
	v_mul_f64_e32 v[72:73], s[20:21], v[68:69]
	v_mul_f64_e32 v[68:69], s[30:31], v[68:69]
	s_delay_alu instid0(VALU_DEP_2) | instskip(NEXT) | instid1(VALU_DEP_2)
	v_fma_f64 v[72:73], v[70:71], s[30:31], v[72:73]
	v_fma_f64 v[74:75], v[70:71], s[16:17], v[68:69]
	s_delay_alu instid0(VALU_DEP_2) | instskip(NEXT) | instid1(VALU_DEP_2)
	v_add_f64_e32 v[68:69], v[76:77], v[72:73]
	v_add_f64_e32 v[70:71], v[78:79], v[74:75]
	v_add_f64_e64 v[72:73], v[76:77], -v[72:73]
	v_add_f64_e64 v[74:75], v[78:79], -v[74:75]
	ds_store_b128 v147, v[4:7]
	ds_store_b128 v147, v[12:15] offset:480
	ds_store_b128 v147, v[52:55] offset:960
	;; [unrolled: 1-line block ×9, first 2 shown]
	v_add_f64_e32 v[4:5], v[30:31], v[40:41]
	v_add_f64_e32 v[6:7], v[18:19], v[20:21]
	v_add_f64_e64 v[76:77], v[20:21], -v[48:49]
	v_add_f64_e64 v[78:79], v[28:29], -v[36:37]
	;; [unrolled: 1-line block ×4, first 2 shown]
	v_fma_f64 v[52:53], v[4:5], -0.5, v[0:1]
	v_add_f64_e32 v[4:5], v[24:25], v[44:45]
	v_add_f64_e32 v[6:7], v[6:7], v[28:29]
	s_delay_alu instid0(VALU_DEP_2) | instskip(SKIP_2) | instid1(VALU_DEP_4)
	v_fma_f64 v[54:55], v[4:5], -0.5, v[0:1]
	v_add_f64_e32 v[4:5], v[32:33], v[42:43]
	v_add_f64_e32 v[0:1], v[0:1], v[24:25]
	;; [unrolled: 1-line block ×3, first 2 shown]
	s_delay_alu instid0(VALU_DEP_3) | instskip(SKIP_1) | instid1(VALU_DEP_4)
	v_fma_f64 v[56:57], v[4:5], -0.5, v[2:3]
	v_add_f64_e32 v[4:5], v[26:27], v[46:47]
	v_add_f64_e32 v[0:1], v[0:1], v[30:31]
	s_delay_alu instid0(VALU_DEP_4) | instskip(NEXT) | instid1(VALU_DEP_3)
	v_add_f64_e32 v[6:7], v[6:7], v[48:49]
	v_fma_f64 v[58:59], v[4:5], -0.5, v[2:3]
	v_add_f64_e32 v[2:3], v[2:3], v[26:27]
	v_add_f64_e32 v[4:5], v[16:17], v[22:23]
	;; [unrolled: 1-line block ×3, first 2 shown]
	s_delay_alu instid0(VALU_DEP_3) | instskip(NEXT) | instid1(VALU_DEP_3)
	v_add_f64_e32 v[2:3], v[2:3], v[32:33]
	v_add_f64_e32 v[4:5], v[4:5], v[34:35]
	s_delay_alu instid0(VALU_DEP_3) | instskip(NEXT) | instid1(VALU_DEP_3)
	v_add_f64_e32 v[8:9], v[0:1], v[44:45]
	v_add_f64_e32 v[2:3], v[2:3], v[42:43]
	s_delay_alu instid0(VALU_DEP_3) | instskip(NEXT) | instid1(VALU_DEP_2)
	v_add_f64_e32 v[4:5], v[4:5], v[38:39]
	v_add_f64_e32 v[10:11], v[2:3], v[46:47]
	s_delay_alu instid0(VALU_DEP_2) | instskip(NEXT) | instid1(VALU_DEP_2)
	v_add_f64_e32 v[4:5], v[4:5], v[50:51]
	v_add_f64_e32 v[2:3], v[10:11], v[6:7]
	s_delay_alu instid0(VALU_DEP_2)
	v_add_f64_e32 v[0:1], v[8:9], v[4:5]
	v_add_f64_e64 v[4:5], v[8:9], -v[4:5]
	v_add_f64_e64 v[6:7], v[10:11], -v[6:7]
	;; [unrolled: 1-line block ×6, first 2 shown]
	s_delay_alu instid0(VALU_DEP_3) | instskip(SKIP_2) | instid1(VALU_DEP_4)
	v_add_f64_e32 v[60:61], v[8:9], v[10:11]
	v_add_f64_e64 v[8:9], v[26:27], -v[32:33]
	v_add_f64_e64 v[10:11], v[46:47], -v[42:43]
	v_add_f64_e32 v[24:25], v[24:25], v[30:31]
	v_add_f64_e64 v[26:27], v[32:33], -v[26:27]
	v_add_f64_e64 v[32:33], v[42:43], -v[46:47]
	s_delay_alu instid0(VALU_DEP_4) | instskip(SKIP_2) | instid1(VALU_DEP_4)
	v_add_f64_e32 v[62:63], v[8:9], v[10:11]
	v_add_f64_e64 v[8:9], v[22:23], -v[34:35]
	v_add_f64_e64 v[10:11], v[50:51], -v[38:39]
	v_add_f64_e32 v[26:27], v[26:27], v[32:33]
	s_delay_alu instid0(VALU_DEP_2) | instskip(SKIP_2) | instid1(VALU_DEP_1)
	v_add_f64_e32 v[64:65], v[8:9], v[10:11]
	v_add_f64_e64 v[8:9], v[20:21], -v[28:29]
	v_add_f64_e64 v[10:11], v[48:49], -v[36:37]
	v_add_f64_e32 v[66:67], v[8:9], v[10:11]
	v_add_f64_e32 v[8:9], v[34:35], v[38:39]
	v_add_f64_e64 v[34:35], v[34:35], -v[22:23]
	v_add_f64_e32 v[22:23], v[22:23], v[50:51]
	v_add_f64_e64 v[38:39], v[38:39], -v[50:51]
	s_delay_alu instid0(VALU_DEP_4)
	v_fma_f64 v[68:69], v[8:9], -0.5, v[16:17]
	v_add_f64_e32 v[8:9], v[28:29], v[36:37]
	v_add_f64_e64 v[28:29], v[28:29], -v[20:21]
	v_add_f64_e32 v[20:21], v[20:21], v[48:49]
	v_add_f64_e64 v[36:37], v[36:37], -v[48:49]
	v_fma_f64 v[30:31], v[22:23], -0.5, v[16:17]
	v_add_f64_e32 v[32:33], v[34:35], v[38:39]
	v_fma_f64 v[10:11], v[76:77], s[24:25], v[68:69]
	v_fma_f64 v[70:71], v[8:9], -0.5, v[18:19]
	v_fma_f64 v[38:39], v[76:77], s[22:23], v[68:69]
	v_fma_f64 v[40:41], v[20:21], -0.5, v[18:19]
	v_add_f64_e32 v[28:29], v[28:29], v[36:37]
	v_fma_f64 v[18:19], v[78:79], s[22:23], v[30:31]
	v_fma_f64 v[10:11], v[78:79], s[20:21], v[10:11]
	;; [unrolled: 1-line block ×8, first 2 shown]
	s_delay_alu instid0(VALU_DEP_4) | instskip(NEXT) | instid1(VALU_DEP_4)
	v_fma_f64 v[16:17], v[72:73], s[16:17], v[16:17]
	v_fma_f64 v[18:19], v[32:33], s[18:19], v[18:19]
	s_delay_alu instid0(VALU_DEP_3) | instskip(NEXT) | instid1(VALU_DEP_3)
	v_fma_f64 v[8:9], v[66:67], s[18:19], v[8:9]
	v_fma_f64 v[16:17], v[28:29], s[18:19], v[16:17]
	s_delay_alu instid0(VALU_DEP_2) | instskip(SKIP_1) | instid1(VALU_DEP_3)
	v_mul_f64_e32 v[12:13], s[20:21], v[8:9]
	v_mul_f64_e32 v[8:9], s[26:27], v[8:9]
	;; [unrolled: 1-line block ×4, first 2 shown]
	s_delay_alu instid0(VALU_DEP_4) | instskip(NEXT) | instid1(VALU_DEP_4)
	v_fma_f64 v[12:13], v[10:11], s[26:27], v[12:13]
	v_fma_f64 v[14:15], v[10:11], s[16:17], v[8:9]
	s_delay_alu instid0(VALU_DEP_4) | instskip(NEXT) | instid1(VALU_DEP_4)
	v_fma_f64 v[20:21], v[18:19], s[18:19], v[20:21]
	v_fma_f64 v[22:23], v[18:19], s[22:23], v[16:17]
	;; [unrolled: 1-line block ×6, first 2 shown]
	s_delay_alu instid0(VALU_DEP_4) | instskip(NEXT) | instid1(VALU_DEP_4)
	v_fma_f64 v[16:17], v[80:81], s[20:21], v[16:17]
	v_fma_f64 v[18:19], v[84:85], s[16:17], v[18:19]
	s_delay_alu instid0(VALU_DEP_4) | instskip(NEXT) | instid1(VALU_DEP_4)
	v_fma_f64 v[8:9], v[82:83], s[20:21], v[8:9]
	v_fma_f64 v[10:11], v[86:87], s[16:17], v[10:11]
	;; [unrolled: 3-line block ×4, first 2 shown]
	s_delay_alu instid0(VALU_DEP_4)
	v_add_f64_e32 v[16:17], v[34:35], v[20:21]
	v_add_f64_e64 v[20:21], v[34:35], -v[20:21]
	v_fma_f64 v[34:35], v[82:83], s[24:25], v[54:55]
	v_add_f64_e32 v[18:19], v[36:37], v[22:23]
	v_add_f64_e64 v[22:23], v[36:37], -v[22:23]
	v_add_f64_e32 v[8:9], v[88:89], v[12:13]
	v_add_f64_e32 v[10:11], v[90:91], v[14:15]
	v_add_f64_e64 v[12:13], v[88:89], -v[12:13]
	v_add_f64_e64 v[14:15], v[90:91], -v[14:15]
	v_fma_f64 v[34:35], v[80:81], s[16:17], v[34:35]
	s_delay_alu instid0(VALU_DEP_1) | instskip(SKIP_1) | instid1(VALU_DEP_1)
	v_fma_f64 v[34:35], v[24:25], s[18:19], v[34:35]
	v_fma_f64 v[24:25], v[86:87], s[22:23], v[58:59]
	;; [unrolled: 1-line block ×3, first 2 shown]
	s_delay_alu instid0(VALU_DEP_1) | instskip(SKIP_2) | instid1(VALU_DEP_2)
	v_fma_f64 v[36:37], v[26:27], s[18:19], v[24:25]
	v_fma_f64 v[24:25], v[74:75], s[22:23], v[40:41]
	;; [unrolled: 1-line block ×4, first 2 shown]
	s_delay_alu instid0(VALU_DEP_2) | instskip(NEXT) | instid1(VALU_DEP_2)
	v_fma_f64 v[26:27], v[76:77], s[16:17], v[26:27]
	v_fma_f64 v[24:25], v[28:29], s[18:19], v[24:25]
	s_delay_alu instid0(VALU_DEP_2) | instskip(SKIP_1) | instid1(VALU_DEP_3)
	v_fma_f64 v[26:27], v[32:33], s[18:19], v[26:27]
	v_fma_f64 v[32:33], v[72:73], s[24:25], v[70:71]
	v_mul_f64_e32 v[28:29], s[24:25], v[24:25]
	v_mul_f64_e32 v[24:25], s[28:29], v[24:25]
	s_delay_alu instid0(VALU_DEP_3) | instskip(NEXT) | instid1(VALU_DEP_3)
	v_fma_f64 v[32:33], v[74:75], s[20:21], v[32:33]
	v_fma_f64 v[28:29], v[26:27], s[28:29], v[28:29]
	s_delay_alu instid0(VALU_DEP_3) | instskip(NEXT) | instid1(VALU_DEP_3)
	v_fma_f64 v[30:31], v[26:27], s[22:23], v[24:25]
	v_fma_f64 v[32:33], v[66:67], s[18:19], v[32:33]
	s_delay_alu instid0(VALU_DEP_3) | instskip(NEXT) | instid1(VALU_DEP_3)
	v_add_f64_e32 v[24:25], v[34:35], v[28:29]
	v_add_f64_e32 v[26:27], v[36:37], v[30:31]
	v_add_f64_e64 v[28:29], v[34:35], -v[28:29]
	v_add_f64_e64 v[30:31], v[36:37], -v[30:31]
	v_fma_f64 v[34:35], v[80:81], s[22:23], v[52:53]
	v_fma_f64 v[36:37], v[84:85], s[24:25], v[56:57]
	s_delay_alu instid0(VALU_DEP_2) | instskip(NEXT) | instid1(VALU_DEP_2)
	v_fma_f64 v[34:35], v[82:83], s[16:17], v[34:35]
	v_fma_f64 v[36:37], v[86:87], s[20:21], v[36:37]
	s_delay_alu instid0(VALU_DEP_2) | instskip(NEXT) | instid1(VALU_DEP_2)
	v_fma_f64 v[40:41], v[60:61], s[18:19], v[34:35]
	v_fma_f64 v[42:43], v[62:63], s[18:19], v[36:37]
	v_fma_f64 v[34:35], v[64:65], s[18:19], v[38:39]
	v_mul_f64_e32 v[36:37], s[20:21], v[32:33]
	v_mul_f64_e32 v[32:33], s[30:31], v[32:33]
	s_delay_alu instid0(VALU_DEP_2) | instskip(NEXT) | instid1(VALU_DEP_2)
	v_fma_f64 v[36:37], v[34:35], s[30:31], v[36:37]
	v_fma_f64 v[38:39], v[34:35], s[16:17], v[32:33]
	s_delay_alu instid0(VALU_DEP_2) | instskip(NEXT) | instid1(VALU_DEP_2)
	v_add_f64_e32 v[32:33], v[40:41], v[36:37]
	v_add_f64_e32 v[34:35], v[42:43], v[38:39]
	v_add_f64_e64 v[36:37], v[40:41], -v[36:37]
	v_add_f64_e64 v[38:39], v[42:43], -v[38:39]
	ds_store_b128 v146, v[0:3]
	ds_store_b128 v146, v[8:11] offset:480
	ds_store_b128 v146, v[16:19] offset:960
	;; [unrolled: 1-line block ×9, first 2 shown]
	global_wb scope:SCOPE_SE
	s_wait_dscnt 0x0
	s_barrier_signal -1
	s_barrier_wait -1
	global_inv scope:SCOPE_SE
	ds_load_b128 v[5:8], v148 offset:14400
	ds_load_b128 v[0:3], v148 offset:12960
	scratch_load_b128 v[11:14], off, off offset:824 th:TH_LOAD_LU ; 16-byte Folded Reload
	s_wait_loadcnt_dscnt 0x1
	v_mul_f64_e32 v[9:10], v[13:14], v[7:8]
	s_delay_alu instid0(VALU_DEP_1) | instskip(SKIP_1) | instid1(VALU_DEP_1)
	v_fma_f64 v[20:21], v[11:12], v[5:6], v[9:10]
	v_mul_f64_e32 v[4:5], v[13:14], v[5:6]
	v_fma_f64 v[22:23], v[11:12], v[7:8], -v[4:5]
	ds_load_b128 v[4:7], v148 offset:28800
	ds_load_b128 v[8:11], v148 offset:27360
	scratch_load_b128 v[14:17], off, off offset:808 th:TH_LOAD_LU ; 16-byte Folded Reload
	s_wait_loadcnt_dscnt 0x1
	v_mul_f64_e32 v[12:13], v[16:17], v[6:7]
	s_delay_alu instid0(VALU_DEP_1) | instskip(SKIP_1) | instid1(VALU_DEP_1)
	v_fma_f64 v[24:25], v[14:15], v[4:5], v[12:13]
	v_mul_f64_e32 v[4:5], v[16:17], v[4:5]
	v_fma_f64 v[26:27], v[14:15], v[6:7], -v[4:5]
	;; [unrolled: 9-line block ×3, first 2 shown]
	ds_load_b128 v[4:7], v148 offset:30240
	ds_load_b128 v[16:19], v148 offset:31680
	s_clause 0x1
	scratch_load_b128 v[34:37], off, off offset:840 th:TH_LOAD_LU
	scratch_load_b128 v[38:41], off, off offset:872 th:TH_LOAD_LU
	s_wait_loadcnt_dscnt 0x101
	v_mul_f64_e32 v[32:33], v[36:37], v[6:7]
	s_delay_alu instid0(VALU_DEP_1) | instskip(SKIP_1) | instid1(VALU_DEP_1)
	v_fma_f64 v[32:33], v[34:35], v[4:5], v[32:33]
	v_mul_f64_e32 v[4:5], v[36:37], v[4:5]
	v_fma_f64 v[34:35], v[34:35], v[6:7], -v[4:5]
	s_wait_loadcnt 0x0
	v_mul_f64_e32 v[4:5], v[40:41], v[14:15]
	s_delay_alu instid0(VALU_DEP_1) | instskip(SKIP_1) | instid1(VALU_DEP_1)
	v_fma_f64 v[36:37], v[38:39], v[12:13], v[4:5]
	v_mul_f64_e32 v[4:5], v[40:41], v[12:13]
	v_fma_f64 v[38:39], v[38:39], v[14:15], -v[4:5]
	scratch_load_b128 v[12:15], off, off offset:888 th:TH_LOAD_LU ; 16-byte Folded Reload
	s_wait_loadcnt_dscnt 0x0
	v_mul_f64_e32 v[4:5], v[14:15], v[18:19]
	s_delay_alu instid0(VALU_DEP_1) | instskip(SKIP_1) | instid1(VALU_DEP_1)
	v_fma_f64 v[40:41], v[12:13], v[16:17], v[4:5]
	v_mul_f64_e32 v[4:5], v[14:15], v[16:17]
	v_fma_f64 v[42:43], v[12:13], v[18:19], -v[4:5]
	ds_load_b128 v[4:7], v148 offset:18720
	ds_load_b128 v[12:15], v148 offset:20160
	scratch_load_b128 v[44:47], off, off offset:920 th:TH_LOAD_LU ; 16-byte Folded Reload
	s_wait_loadcnt_dscnt 0x1
	v_mul_f64_e32 v[16:17], v[46:47], v[6:7]
	s_delay_alu instid0(VALU_DEP_1) | instskip(SKIP_1) | instid1(VALU_DEP_1)
	v_fma_f64 v[48:49], v[44:45], v[4:5], v[16:17]
	v_mul_f64_e32 v[4:5], v[46:47], v[4:5]
	v_fma_f64 v[50:51], v[44:45], v[6:7], -v[4:5]
	ds_load_b128 v[4:7], v148 offset:33120
	ds_load_b128 v[16:19], v148 offset:34560
	scratch_load_b128 v[54:57], off, off offset:904 th:TH_LOAD_LU ; 16-byte Folded Reload
	s_wait_loadcnt_dscnt 0x1
	v_mul_f64_e32 v[44:45], v[56:57], v[6:7]
	s_delay_alu instid0(VALU_DEP_1) | instskip(SKIP_2) | instid1(VALU_DEP_1)
	v_fma_f64 v[52:53], v[54:55], v[4:5], v[44:45]
	scratch_load_b128 v[44:47], off, off offset:936 th:TH_LOAD_LU ; 16-byte Folded Reload
	v_mul_f64_e32 v[4:5], v[56:57], v[4:5]
	v_fma_f64 v[54:55], v[54:55], v[6:7], -v[4:5]
	s_wait_loadcnt 0x0
	v_mul_f64_e32 v[4:5], v[46:47], v[14:15]
	s_delay_alu instid0(VALU_DEP_1) | instskip(SKIP_1) | instid1(VALU_DEP_1)
	v_fma_f64 v[72:73], v[44:45], v[12:13], v[4:5]
	v_mul_f64_e32 v[4:5], v[46:47], v[12:13]
	v_fma_f64 v[74:75], v[44:45], v[14:15], -v[4:5]
	scratch_load_b128 v[12:15], off, off offset:952 th:TH_LOAD_LU ; 16-byte Folded Reload
	s_wait_loadcnt_dscnt 0x0
	v_mul_f64_e32 v[4:5], v[14:15], v[18:19]
	s_delay_alu instid0(VALU_DEP_1) | instskip(SKIP_1) | instid1(VALU_DEP_1)
	v_fma_f64 v[76:77], v[12:13], v[16:17], v[4:5]
	v_mul_f64_e32 v[4:5], v[14:15], v[16:17]
	v_fma_f64 v[78:79], v[12:13], v[18:19], -v[4:5]
	ds_load_b128 v[4:7], v148 offset:21600
	ds_load_b128 v[12:15], v148 offset:23040
	scratch_load_b128 v[44:47], off, off offset:984 th:TH_LOAD_LU ; 16-byte Folded Reload
	s_wait_loadcnt_dscnt 0x1
	v_mul_f64_e32 v[16:17], v[46:47], v[6:7]
	s_delay_alu instid0(VALU_DEP_1) | instskip(SKIP_1) | instid1(VALU_DEP_1)
	v_fma_f64 v[80:81], v[44:45], v[4:5], v[16:17]
	v_mul_f64_e32 v[4:5], v[46:47], v[4:5]
	v_fma_f64 v[82:83], v[44:45], v[6:7], -v[4:5]
	ds_load_b128 v[4:7], v148 offset:36000
	ds_load_b128 v[16:19], v148 offset:37440
	scratch_load_b128 v[56:59], off, off offset:968 th:TH_LOAD_LU ; 16-byte Folded Reload
	s_wait_loadcnt_dscnt 0x1
	v_mul_f64_e32 v[44:45], v[58:59], v[6:7]
	s_delay_alu instid0(VALU_DEP_1) | instskip(SKIP_2) | instid1(VALU_DEP_1)
	v_fma_f64 v[84:85], v[56:57], v[4:5], v[44:45]
	scratch_load_b128 v[44:47], off, off offset:1000 th:TH_LOAD_LU ; 16-byte Folded Reload
	v_mul_f64_e32 v[4:5], v[58:59], v[4:5]
	v_fma_f64 v[86:87], v[56:57], v[6:7], -v[4:5]
	s_wait_loadcnt 0x0
	v_mul_f64_e32 v[4:5], v[46:47], v[14:15]
	s_delay_alu instid0(VALU_DEP_1) | instskip(SKIP_1) | instid1(VALU_DEP_1)
	v_fma_f64 v[88:89], v[44:45], v[12:13], v[4:5]
	v_mul_f64_e32 v[4:5], v[46:47], v[12:13]
	v_fma_f64 v[90:91], v[44:45], v[14:15], -v[4:5]
	scratch_load_b128 v[12:15], off, off offset:1016 th:TH_LOAD_LU ; 16-byte Folded Reload
	s_wait_loadcnt_dscnt 0x0
	v_mul_f64_e32 v[4:5], v[14:15], v[18:19]
	s_delay_alu instid0(VALU_DEP_1) | instskip(SKIP_1) | instid1(VALU_DEP_1)
	v_fma_f64 v[92:93], v[12:13], v[16:17], v[4:5]
	v_mul_f64_e32 v[4:5], v[14:15], v[16:17]
	v_fma_f64 v[94:95], v[12:13], v[18:19], -v[4:5]
	ds_load_b128 v[4:7], v148 offset:24480
	ds_load_b128 v[12:15], v148 offset:25920
	scratch_load_b128 v[44:47], off, off offset:1048 th:TH_LOAD_LU ; 16-byte Folded Reload
	s_wait_loadcnt_dscnt 0x1
	v_mul_f64_e32 v[16:17], v[46:47], v[6:7]
	s_delay_alu instid0(VALU_DEP_1) | instskip(SKIP_1) | instid1(VALU_DEP_1)
	v_fma_f64 v[96:97], v[44:45], v[4:5], v[16:17]
	v_mul_f64_e32 v[4:5], v[46:47], v[4:5]
	v_fma_f64 v[98:99], v[44:45], v[6:7], -v[4:5]
	ds_load_b128 v[4:7], v148 offset:38880
	ds_load_b128 v[16:19], v148 offset:40320
	scratch_load_b128 v[56:59], off, off offset:1032 th:TH_LOAD_LU ; 16-byte Folded Reload
	s_wait_loadcnt_dscnt 0x1
	v_mul_f64_e32 v[44:45], v[58:59], v[6:7]
	s_delay_alu instid0(VALU_DEP_1) | instskip(SKIP_2) | instid1(VALU_DEP_2)
	v_fma_f64 v[100:101], v[56:57], v[4:5], v[44:45]
	v_mul_f64_e32 v[4:5], v[58:59], v[4:5]
	v_add_f64_e32 v[58:59], v[50:51], v[54:55]
	v_fma_f64 v[102:103], v[56:57], v[6:7], -v[4:5]
	v_mul_f64_e32 v[4:5], v[250:251], v[14:15]
	v_add_f64_e32 v[56:57], v[48:49], v[52:53]
	s_delay_alu instid0(VALU_DEP_2) | instskip(SKIP_1) | instid1(VALU_DEP_1)
	v_fma_f64 v[104:105], v[248:249], v[12:13], v[4:5]
	v_mul_f64_e32 v[4:5], v[250:251], v[12:13]
	v_fma_f64 v[106:107], v[248:249], v[14:15], -v[4:5]
	s_wait_dscnt 0x0
	v_mul_f64_e32 v[4:5], v[254:255], v[18:19]
	s_delay_alu instid0(VALU_DEP_1) | instskip(SKIP_2) | instid1(VALU_DEP_2)
	v_fma_f64 v[108:109], v[252:253], v[16:17], v[4:5]
	v_mul_f64_e32 v[4:5], v[254:255], v[16:17]
	v_add_f64_e64 v[16:17], v[20:21], -v[24:25]
	v_fma_f64 v[110:111], v[252:253], v[18:19], -v[4:5]
	v_mul_f64_e32 v[4:5], v[242:243], v[10:11]
	s_delay_alu instid0(VALU_DEP_1) | instskip(SKIP_1) | instid1(VALU_DEP_1)
	v_fma_f64 v[112:113], v[240:241], v[8:9], v[4:5]
	v_mul_f64_e32 v[4:5], v[242:243], v[8:9]
	v_fma_f64 v[114:115], v[240:241], v[10:11], -v[4:5]
	ds_load_b128 v[4:7], v148 offset:41760
	ds_load_b128 v[8:11], v148
	s_wait_dscnt 0x1
	v_mul_f64_e32 v[12:13], v[246:247], v[6:7]
	s_delay_alu instid0(VALU_DEP_1) | instskip(SKIP_1) | instid1(VALU_DEP_1)
	v_fma_f64 v[116:117], v[244:245], v[4:5], v[12:13]
	v_mul_f64_e32 v[4:5], v[246:247], v[4:5]
	v_fma_f64 v[118:119], v[244:245], v[6:7], -v[4:5]
	v_add_f64_e32 v[4:5], v[20:21], v[24:25]
	s_wait_dscnt 0x0
	s_delay_alu instid0(VALU_DEP_1) | instskip(SKIP_2) | instid1(VALU_DEP_2)
	v_fma_f64 v[12:13], v[4:5], -0.5, v[8:9]
	v_add_f64_e32 v[4:5], v[22:23], v[26:27]
	v_add_f64_e32 v[8:9], v[8:9], v[20:21]
	v_fma_f64 v[14:15], v[4:5], -0.5, v[10:11]
	v_add_f64_e32 v[4:5], v[10:11], v[22:23]
	v_add_f64_e64 v[10:11], v[22:23], -v[26:27]
	s_delay_alu instid0(VALU_DEP_2) | instskip(SKIP_2) | instid1(VALU_DEP_4)
	v_add_f64_e32 v[6:7], v[4:5], v[26:27]
	v_add_f64_e32 v[4:5], v[8:9], v[24:25]
	;; [unrolled: 1-line block ×3, first 2 shown]
	v_fma_f64 v[8:9], v[10:11], s[12:13], v[12:13]
	v_fma_f64 v[12:13], v[10:11], s[14:15], v[12:13]
	v_fma_f64 v[10:11], v[16:17], s[14:15], v[14:15]
	v_fma_f64 v[14:15], v[16:17], s[12:13], v[14:15]
	ds_load_b128 v[16:19], v148 offset:1440
	ds_load_b128 v[20:23], v148 offset:2880
	s_wait_dscnt 0x1
	v_fma_f64 v[26:27], v[24:25], -0.5, v[16:17]
	v_add_f64_e32 v[24:25], v[30:31], v[34:35]
	v_add_f64_e32 v[16:17], v[16:17], v[28:29]
	s_delay_alu instid0(VALU_DEP_2) | instskip(SKIP_2) | instid1(VALU_DEP_4)
	v_fma_f64 v[44:45], v[24:25], -0.5, v[18:19]
	v_add_f64_e32 v[18:19], v[18:19], v[30:31]
	v_add_f64_e64 v[30:31], v[30:31], -v[34:35]
	v_add_f64_e32 v[16:17], v[16:17], v[32:33]
	v_add_f64_e64 v[32:33], v[28:29], -v[32:33]
	s_delay_alu instid0(VALU_DEP_4) | instskip(NEXT) | instid1(VALU_DEP_4)
	v_add_f64_e32 v[18:19], v[18:19], v[34:35]
	v_fma_f64 v[24:25], v[30:31], s[12:13], v[26:27]
	v_fma_f64 v[28:29], v[30:31], s[14:15], v[26:27]
	s_delay_alu instid0(VALU_DEP_4) | instskip(SKIP_3) | instid1(VALU_DEP_1)
	v_fma_f64 v[26:27], v[32:33], s[14:15], v[44:45]
	v_fma_f64 v[30:31], v[32:33], s[12:13], v[44:45]
	v_add_f64_e32 v[32:33], v[36:37], v[40:41]
	s_wait_dscnt 0x0
	v_fma_f64 v[34:35], v[32:33], -0.5, v[20:21]
	v_add_f64_e32 v[32:33], v[38:39], v[42:43]
	v_add_f64_e32 v[20:21], v[20:21], v[36:37]
	s_delay_alu instid0(VALU_DEP_2) | instskip(SKIP_2) | instid1(VALU_DEP_4)
	v_fma_f64 v[44:45], v[32:33], -0.5, v[22:23]
	v_add_f64_e32 v[22:23], v[22:23], v[38:39]
	v_add_f64_e64 v[38:39], v[38:39], -v[42:43]
	v_add_f64_e32 v[20:21], v[20:21], v[40:41]
	v_add_f64_e64 v[40:41], v[36:37], -v[40:41]
	s_delay_alu instid0(VALU_DEP_4) | instskip(NEXT) | instid1(VALU_DEP_4)
	v_add_f64_e32 v[22:23], v[22:23], v[42:43]
	v_fma_f64 v[32:33], v[38:39], s[12:13], v[34:35]
	v_fma_f64 v[36:37], v[38:39], s[14:15], v[34:35]
	s_delay_alu instid0(VALU_DEP_4)
	v_fma_f64 v[34:35], v[40:41], s[14:15], v[44:45]
	v_fma_f64 v[38:39], v[40:41], s[12:13], v[44:45]
	ds_load_b128 v[40:43], v148 offset:4320
	ds_load_b128 v[44:47], v148 offset:5760
	s_wait_dscnt 0x1
	v_fma_f64 v[58:59], v[58:59], -0.5, v[42:43]
	v_add_f64_e32 v[42:43], v[42:43], v[50:51]
	v_fma_f64 v[56:57], v[56:57], -0.5, v[40:41]
	v_add_f64_e32 v[40:41], v[40:41], v[48:49]
	v_add_f64_e64 v[50:51], v[50:51], -v[54:55]
	s_delay_alu instid0(VALU_DEP_4) | instskip(SKIP_1) | instid1(VALU_DEP_4)
	v_add_f64_e32 v[42:43], v[42:43], v[54:55]
	v_add_f64_e64 v[54:55], v[48:49], -v[52:53]
	v_add_f64_e32 v[40:41], v[40:41], v[52:53]
	s_delay_alu instid0(VALU_DEP_4) | instskip(SKIP_1) | instid1(VALU_DEP_4)
	v_fma_f64 v[48:49], v[50:51], s[12:13], v[56:57]
	v_fma_f64 v[52:53], v[50:51], s[14:15], v[56:57]
	;; [unrolled: 1-line block ×4, first 2 shown]
	ds_load_b128 v[56:59], v148 offset:7200
	ds_load_b128 v[60:63], v148 offset:8640
	;; [unrolled: 1-line block ×4, first 2 shown]
	global_wb scope:SCOPE_SE
	s_wait_dscnt 0x0
	s_barrier_signal -1
	s_barrier_wait -1
	global_inv scope:SCOPE_SE
	ds_store_b128 v148, v[4:7]
	ds_store_b128 v148, v[16:19] offset:1440
	ds_store_b128 v148, v[20:23] offset:2880
	;; [unrolled: 1-line block ×8, first 2 shown]
	ds_store_b128 v174, v[40:43]
	ds_store_b128 v174, v[48:51] offset:4800
	ds_store_b128 v174, v[52:55] offset:9600
	v_add_f64_e32 v[4:5], v[72:73], v[76:77]
	v_add_f64_e32 v[8:9], v[44:45], v[72:73]
	v_add_f64_e64 v[12:13], v[74:75], -v[78:79]
	v_add_f64_e64 v[16:17], v[72:73], -v[76:77]
	v_add_f64_e32 v[20:21], v[56:57], v[80:81]
	v_add_f64_e64 v[24:25], v[82:83], -v[86:87]
	v_add_f64_e64 v[28:29], v[80:81], -v[84:85]
	;; [unrolled: 3-line block ×3, first 2 shown]
	v_fma_f64 v[10:11], v[4:5], -0.5, v[44:45]
	v_add_f64_e32 v[4:5], v[74:75], v[78:79]
	s_delay_alu instid0(VALU_DEP_1) | instskip(SKIP_1) | instid1(VALU_DEP_1)
	v_fma_f64 v[14:15], v[4:5], -0.5, v[46:47]
	v_add_f64_e32 v[4:5], v[46:47], v[74:75]
	v_add_f64_e32 v[6:7], v[4:5], v[78:79]
	;; [unrolled: 1-line block ×3, first 2 shown]
	v_fma_f64 v[8:9], v[12:13], s[12:13], v[10:11]
	v_fma_f64 v[12:13], v[12:13], s[14:15], v[10:11]
	;; [unrolled: 1-line block ×4, first 2 shown]
	v_add_f64_e32 v[16:17], v[80:81], v[84:85]
	s_delay_alu instid0(VALU_DEP_1) | instskip(SKIP_1) | instid1(VALU_DEP_1)
	v_fma_f64 v[22:23], v[16:17], -0.5, v[56:57]
	v_add_f64_e32 v[16:17], v[82:83], v[86:87]
	v_fma_f64 v[26:27], v[16:17], -0.5, v[58:59]
	v_add_f64_e32 v[16:17], v[58:59], v[82:83]
	s_delay_alu instid0(VALU_DEP_1)
	v_add_f64_e32 v[18:19], v[16:17], v[86:87]
	v_add_f64_e32 v[16:17], v[20:21], v[84:85]
	v_fma_f64 v[20:21], v[24:25], s[12:13], v[22:23]
	v_fma_f64 v[24:25], v[24:25], s[14:15], v[22:23]
	;; [unrolled: 1-line block ×4, first 2 shown]
	v_add_f64_e32 v[28:29], v[88:89], v[92:93]
	s_delay_alu instid0(VALU_DEP_1) | instskip(SKIP_1) | instid1(VALU_DEP_1)
	v_fma_f64 v[34:35], v[28:29], -0.5, v[60:61]
	v_add_f64_e32 v[28:29], v[90:91], v[94:95]
	v_fma_f64 v[38:39], v[28:29], -0.5, v[62:63]
	v_add_f64_e32 v[28:29], v[62:63], v[90:91]
	s_delay_alu instid0(VALU_DEP_1)
	v_add_f64_e32 v[30:31], v[28:29], v[94:95]
	v_add_f64_e32 v[28:29], v[32:33], v[92:93]
	v_fma_f64 v[32:33], v[36:37], s[12:13], v[34:35]
	v_fma_f64 v[36:37], v[36:37], s[14:15], v[34:35]
	;; [unrolled: 1-line block ×4, first 2 shown]
	ds_store_b128 v148, v[4:7] offset:15360
	ds_store_b128 v148, v[16:19] offset:16800
	;; [unrolled: 1-line block ×6, first 2 shown]
	ds_store_b128 v203, v[28:31]
	ds_store_b128 v203, v[32:35] offset:4800
	ds_store_b128 v203, v[36:39] offset:9600
	v_add_f64_e32 v[4:5], v[96:97], v[100:101]
	v_add_f64_e32 v[8:9], v[64:65], v[96:97]
	v_add_f64_e64 v[12:13], v[98:99], -v[102:103]
	v_add_f64_e64 v[16:17], v[96:97], -v[100:101]
	s_delay_alu instid0(VALU_DEP_4) | instskip(SKIP_1) | instid1(VALU_DEP_1)
	v_fma_f64 v[10:11], v[4:5], -0.5, v[64:65]
	v_add_f64_e32 v[4:5], v[98:99], v[102:103]
	v_fma_f64 v[14:15], v[4:5], -0.5, v[66:67]
	v_add_f64_e32 v[4:5], v[66:67], v[98:99]
	s_delay_alu instid0(VALU_DEP_1)
	v_add_f64_e32 v[6:7], v[4:5], v[102:103]
	v_add_f64_e32 v[4:5], v[8:9], v[100:101]
	v_fma_f64 v[8:9], v[12:13], s[12:13], v[10:11]
	v_fma_f64 v[12:13], v[12:13], s[14:15], v[10:11]
	;; [unrolled: 1-line block ×4, first 2 shown]
	ds_store_b128 v202, v[4:7] offset:28800
	ds_store_b128 v202, v[8:11] offset:33600
	;; [unrolled: 1-line block ×3, first 2 shown]
	v_add_f64_e32 v[4:5], v[104:105], v[108:109]
	v_add_f64_e32 v[8:9], v[68:69], v[104:105]
	v_add_f64_e64 v[12:13], v[106:107], -v[110:111]
	v_add_f64_e64 v[16:17], v[104:105], -v[108:109]
	s_delay_alu instid0(VALU_DEP_4) | instskip(SKIP_1) | instid1(VALU_DEP_1)
	v_fma_f64 v[10:11], v[4:5], -0.5, v[68:69]
	v_add_f64_e32 v[4:5], v[106:107], v[110:111]
	v_fma_f64 v[14:15], v[4:5], -0.5, v[70:71]
	v_add_f64_e32 v[4:5], v[70:71], v[106:107]
	s_delay_alu instid0(VALU_DEP_1)
	v_add_f64_e32 v[6:7], v[4:5], v[110:111]
	v_add_f64_e32 v[4:5], v[8:9], v[108:109]
	v_fma_f64 v[8:9], v[12:13], s[12:13], v[10:11]
	v_fma_f64 v[12:13], v[12:13], s[14:15], v[10:11]
	;; [unrolled: 1-line block ×4, first 2 shown]
	ds_store_b128 v201, v[4:7] offset:28800
	ds_store_b128 v201, v[8:11] offset:33600
	;; [unrolled: 1-line block ×3, first 2 shown]
	v_add_f64_e32 v[4:5], v[112:113], v[116:117]
	v_add_f64_e64 v[8:9], v[114:115], -v[118:119]
	v_add_f64_e64 v[12:13], v[112:113], -v[116:117]
	s_delay_alu instid0(VALU_DEP_3) | instskip(SKIP_2) | instid1(VALU_DEP_2)
	v_fma_f64 v[6:7], v[4:5], -0.5, v[0:1]
	v_add_f64_e32 v[4:5], v[114:115], v[118:119]
	v_add_f64_e32 v[0:1], v[0:1], v[112:113]
	v_fma_f64 v[10:11], v[4:5], -0.5, v[2:3]
	v_add_f64_e32 v[2:3], v[2:3], v[114:115]
	s_delay_alu instid0(VALU_DEP_3)
	v_add_f64_e32 v[0:1], v[0:1], v[116:117]
	v_fma_f64 v[4:5], v[8:9], s[12:13], v[6:7]
	v_fma_f64 v[8:9], v[8:9], s[14:15], v[6:7]
	;; [unrolled: 1-line block ×3, first 2 shown]
	v_add_f64_e32 v[2:3], v[2:3], v[118:119]
	v_fma_f64 v[10:11], v[12:13], s[12:13], v[10:11]
	ds_store_b128 v179, v[0:3] offset:28800
	ds_store_b128 v179, v[4:7] offset:33600
	;; [unrolled: 1-line block ×3, first 2 shown]
	global_wb scope:SCOPE_SE
	s_wait_dscnt 0x0
	s_barrier_signal -1
	s_barrier_wait -1
	global_inv scope:SCOPE_SE
	ds_load_b128 v[0:3], v148 offset:14400
	ds_load_b128 v[4:7], v148 offset:12960
	s_wait_dscnt 0x1
	v_mul_f64_e32 v[8:9], v[177:178], v[2:3]
	s_delay_alu instid0(VALU_DEP_1) | instskip(SKIP_1) | instid1(VALU_DEP_1)
	v_fma_f64 v[20:21], v[175:176], v[0:1], v[8:9]
	v_mul_f64_e32 v[0:1], v[177:178], v[0:1]
	v_fma_f64 v[22:23], v[175:176], v[2:3], -v[0:1]
	ds_load_b128 v[0:3], v148 offset:28800
	ds_load_b128 v[8:11], v148 offset:27360
	scratch_load_b128 v[14:17], off, off offset:504 th:TH_LOAD_LU ; 16-byte Folded Reload
	s_wait_loadcnt_dscnt 0x1
	v_mul_f64_e32 v[12:13], v[16:17], v[2:3]
	s_delay_alu instid0(VALU_DEP_1) | instskip(SKIP_1) | instid1(VALU_DEP_1)
	v_fma_f64 v[24:25], v[14:15], v[0:1], v[12:13]
	v_mul_f64_e32 v[0:1], v[16:17], v[0:1]
	v_fma_f64 v[26:27], v[14:15], v[2:3], -v[0:1]
	ds_load_b128 v[0:3], v148 offset:15840
	ds_load_b128 v[12:15], v148 offset:17280
	scratch_load_b128 v[30:33], off, off offset:536 th:TH_LOAD_LU ; 16-byte Folded Reload
	s_wait_loadcnt_dscnt 0x1
	v_mul_f64_e32 v[16:17], v[32:33], v[2:3]
	s_delay_alu instid0(VALU_DEP_1) | instskip(SKIP_1) | instid1(VALU_DEP_1)
	v_fma_f64 v[28:29], v[30:31], v[0:1], v[16:17]
	v_mul_f64_e32 v[0:1], v[32:33], v[0:1]
	v_fma_f64 v[30:31], v[30:31], v[2:3], -v[0:1]
	ds_load_b128 v[0:3], v148 offset:30240
	ds_load_b128 v[16:19], v148 offset:31680
	s_clause 0x1
	scratch_load_b128 v[34:37], off, off offset:520 th:TH_LOAD_LU
	scratch_load_b128 v[38:41], off, off offset:552 th:TH_LOAD_LU
	s_wait_loadcnt_dscnt 0x101
	v_mul_f64_e32 v[32:33], v[36:37], v[2:3]
	s_delay_alu instid0(VALU_DEP_1) | instskip(SKIP_1) | instid1(VALU_DEP_1)
	v_fma_f64 v[32:33], v[34:35], v[0:1], v[32:33]
	v_mul_f64_e32 v[0:1], v[36:37], v[0:1]
	v_fma_f64 v[34:35], v[34:35], v[2:3], -v[0:1]
	s_wait_loadcnt 0x0
	v_mul_f64_e32 v[0:1], v[40:41], v[14:15]
	s_delay_alu instid0(VALU_DEP_1) | instskip(SKIP_1) | instid1(VALU_DEP_1)
	v_fma_f64 v[36:37], v[38:39], v[12:13], v[0:1]
	v_mul_f64_e32 v[0:1], v[40:41], v[12:13]
	v_fma_f64 v[38:39], v[38:39], v[14:15], -v[0:1]
	scratch_load_b128 v[12:15], off, off offset:568 th:TH_LOAD_LU ; 16-byte Folded Reload
	s_wait_loadcnt_dscnt 0x0
	v_mul_f64_e32 v[0:1], v[14:15], v[18:19]
	s_delay_alu instid0(VALU_DEP_1) | instskip(SKIP_1) | instid1(VALU_DEP_1)
	v_fma_f64 v[40:41], v[12:13], v[16:17], v[0:1]
	v_mul_f64_e32 v[0:1], v[14:15], v[16:17]
	v_fma_f64 v[42:43], v[12:13], v[18:19], -v[0:1]
	ds_load_b128 v[0:3], v148 offset:18720
	ds_load_b128 v[12:15], v148 offset:20160
	scratch_load_b128 v[44:47], off, off offset:600 th:TH_LOAD_LU ; 16-byte Folded Reload
	s_wait_loadcnt_dscnt 0x1
	v_mul_f64_e32 v[16:17], v[46:47], v[2:3]
	s_delay_alu instid0(VALU_DEP_1) | instskip(SKIP_1) | instid1(VALU_DEP_1)
	v_fma_f64 v[48:49], v[44:45], v[0:1], v[16:17]
	v_mul_f64_e32 v[0:1], v[46:47], v[0:1]
	v_fma_f64 v[50:51], v[44:45], v[2:3], -v[0:1]
	ds_load_b128 v[0:3], v148 offset:33120
	ds_load_b128 v[16:19], v148 offset:34560
	scratch_load_b128 v[54:57], off, off offset:584 th:TH_LOAD_LU ; 16-byte Folded Reload
	s_wait_loadcnt_dscnt 0x1
	v_mul_f64_e32 v[44:45], v[56:57], v[2:3]
	s_delay_alu instid0(VALU_DEP_1) | instskip(SKIP_2) | instid1(VALU_DEP_1)
	v_fma_f64 v[52:53], v[54:55], v[0:1], v[44:45]
	scratch_load_b128 v[44:47], off, off offset:616 th:TH_LOAD_LU ; 16-byte Folded Reload
	v_mul_f64_e32 v[0:1], v[56:57], v[0:1]
	v_fma_f64 v[54:55], v[54:55], v[2:3], -v[0:1]
	s_wait_loadcnt 0x0
	v_mul_f64_e32 v[0:1], v[46:47], v[14:15]
	s_delay_alu instid0(VALU_DEP_1) | instskip(SKIP_1) | instid1(VALU_DEP_1)
	v_fma_f64 v[56:57], v[44:45], v[12:13], v[0:1]
	v_mul_f64_e32 v[0:1], v[46:47], v[12:13]
	v_fma_f64 v[58:59], v[44:45], v[14:15], -v[0:1]
	scratch_load_b128 v[12:15], off, off offset:632 th:TH_LOAD_LU ; 16-byte Folded Reload
	s_wait_loadcnt_dscnt 0x0
	v_mul_f64_e32 v[0:1], v[14:15], v[18:19]
	s_delay_alu instid0(VALU_DEP_1) | instskip(SKIP_1) | instid1(VALU_DEP_1)
	v_fma_f64 v[60:61], v[12:13], v[16:17], v[0:1]
	v_mul_f64_e32 v[0:1], v[14:15], v[16:17]
	v_fma_f64 v[62:63], v[12:13], v[18:19], -v[0:1]
	ds_load_b128 v[0:3], v148 offset:21600
	ds_load_b128 v[12:15], v148 offset:23040
	scratch_load_b128 v[44:47], off, off offset:664 th:TH_LOAD_LU ; 16-byte Folded Reload
	s_wait_loadcnt_dscnt 0x1
	v_mul_f64_e32 v[16:17], v[46:47], v[2:3]
	s_delay_alu instid0(VALU_DEP_1) | instskip(SKIP_1) | instid1(VALU_DEP_1)
	v_fma_f64 v[72:73], v[44:45], v[0:1], v[16:17]
	v_mul_f64_e32 v[0:1], v[46:47], v[0:1]
	v_fma_f64 v[74:75], v[44:45], v[2:3], -v[0:1]
	ds_load_b128 v[0:3], v148 offset:36000
	ds_load_b128 v[16:19], v148 offset:37440
	scratch_load_b128 v[64:67], off, off offset:648 th:TH_LOAD_LU ; 16-byte Folded Reload
	s_wait_loadcnt_dscnt 0x1
	v_mul_f64_e32 v[44:45], v[66:67], v[2:3]
	s_delay_alu instid0(VALU_DEP_1) | instskip(SKIP_3) | instid1(VALU_DEP_2)
	v_fma_f64 v[76:77], v[64:65], v[0:1], v[44:45]
	scratch_load_b128 v[44:47], off, off offset:680 th:TH_LOAD_LU ; 16-byte Folded Reload
	v_mul_f64_e32 v[0:1], v[66:67], v[0:1]
	v_add_f64_e32 v[88:89], v[72:73], v[76:77]
	v_fma_f64 v[78:79], v[64:65], v[2:3], -v[0:1]
	s_delay_alu instid0(VALU_DEP_1) | instskip(SKIP_2) | instid1(VALU_DEP_1)
	v_add_f64_e32 v[90:91], v[74:75], v[78:79]
	s_wait_loadcnt 0x0
	v_mul_f64_e32 v[0:1], v[46:47], v[14:15]
	v_fma_f64 v[80:81], v[44:45], v[12:13], v[0:1]
	v_mul_f64_e32 v[0:1], v[46:47], v[12:13]
	s_delay_alu instid0(VALU_DEP_1) | instskip(SKIP_3) | instid1(VALU_DEP_1)
	v_fma_f64 v[82:83], v[44:45], v[14:15], -v[0:1]
	scratch_load_b128 v[12:15], off, off offset:696 th:TH_LOAD_LU ; 16-byte Folded Reload
	s_wait_loadcnt_dscnt 0x0
	v_mul_f64_e32 v[0:1], v[14:15], v[18:19]
	v_fma_f64 v[84:85], v[12:13], v[16:17], v[0:1]
	v_mul_f64_e32 v[0:1], v[14:15], v[16:17]
	s_delay_alu instid0(VALU_DEP_1)
	v_fma_f64 v[86:87], v[12:13], v[18:19], -v[0:1]
	ds_load_b128 v[0:3], v148 offset:24480
	ds_load_b128 v[12:15], v148 offset:25920
	scratch_load_b128 v[44:47], off, off offset:728 th:TH_LOAD_LU ; 16-byte Folded Reload
	s_wait_loadcnt_dscnt 0x1
	v_mul_f64_e32 v[16:17], v[46:47], v[2:3]
	s_delay_alu instid0(VALU_DEP_1) | instskip(SKIP_1) | instid1(VALU_DEP_1)
	v_fma_f64 v[96:97], v[44:45], v[0:1], v[16:17]
	v_mul_f64_e32 v[0:1], v[46:47], v[0:1]
	v_fma_f64 v[98:99], v[44:45], v[2:3], -v[0:1]
	ds_load_b128 v[0:3], v148 offset:38880
	ds_load_b128 v[16:19], v148 offset:40320
	scratch_load_b128 v[64:67], off, off offset:712 th:TH_LOAD_LU ; 16-byte Folded Reload
	s_wait_loadcnt_dscnt 0x1
	v_mul_f64_e32 v[44:45], v[66:67], v[2:3]
	s_delay_alu instid0(VALU_DEP_1) | instskip(SKIP_4) | instid1(VALU_DEP_3)
	v_fma_f64 v[100:101], v[64:65], v[0:1], v[44:45]
	scratch_load_b128 v[44:47], off, off offset:744 th:TH_LOAD_LU ; 16-byte Folded Reload
	v_mul_f64_e32 v[0:1], v[66:67], v[0:1]
	v_add_f64_e32 v[66:67], v[50:51], v[54:55]
	v_add_f64_e32 v[120:121], v[96:97], v[100:101]
	v_fma_f64 v[102:103], v[64:65], v[2:3], -v[0:1]
	v_add_f64_e32 v[64:65], v[48:49], v[52:53]
	s_delay_alu instid0(VALU_DEP_2) | instskip(SKIP_2) | instid1(VALU_DEP_1)
	v_add_f64_e32 v[122:123], v[98:99], v[102:103]
	s_wait_loadcnt 0x0
	v_mul_f64_e32 v[0:1], v[46:47], v[14:15]
	v_fma_f64 v[104:105], v[44:45], v[12:13], v[0:1]
	v_mul_f64_e32 v[0:1], v[46:47], v[12:13]
	s_delay_alu instid0(VALU_DEP_1) | instskip(SKIP_3) | instid1(VALU_DEP_1)
	v_fma_f64 v[106:107], v[44:45], v[14:15], -v[0:1]
	scratch_load_b128 v[12:15], off, off offset:760 th:TH_LOAD_LU ; 16-byte Folded Reload
	s_wait_loadcnt_dscnt 0x0
	v_mul_f64_e32 v[0:1], v[14:15], v[18:19]
	v_fma_f64 v[108:109], v[12:13], v[16:17], v[0:1]
	v_mul_f64_e32 v[0:1], v[14:15], v[16:17]
	s_delay_alu instid0(VALU_DEP_1) | instskip(SKIP_3) | instid1(VALU_DEP_1)
	v_fma_f64 v[110:111], v[12:13], v[18:19], -v[0:1]
	scratch_load_b128 v[12:15], off, off offset:792 th:TH_LOAD_LU ; 16-byte Folded Reload
	s_wait_loadcnt 0x0
	v_mul_f64_e32 v[0:1], v[14:15], v[10:11]
	v_fma_f64 v[112:113], v[12:13], v[8:9], v[0:1]
	v_mul_f64_e32 v[0:1], v[14:15], v[8:9]
	s_delay_alu instid0(VALU_DEP_1)
	v_fma_f64 v[114:115], v[12:13], v[10:11], -v[0:1]
	ds_load_b128 v[0:3], v148 offset:41760
	ds_load_b128 v[8:11], v148
	scratch_load_b128 v[14:17], off, off offset:776 th:TH_LOAD_LU ; 16-byte Folded Reload
	s_wait_loadcnt_dscnt 0x1
	v_mul_f64_e32 v[12:13], v[16:17], v[2:3]
	s_delay_alu instid0(VALU_DEP_1) | instskip(SKIP_2) | instid1(VALU_DEP_2)
	v_fma_f64 v[116:117], v[14:15], v[0:1], v[12:13]
	v_mul_f64_e32 v[0:1], v[16:17], v[0:1]
	v_add_f64_e64 v[16:17], v[20:21], -v[24:25]
	v_fma_f64 v[118:119], v[14:15], v[2:3], -v[0:1]
	v_add_f64_e32 v[0:1], v[20:21], v[24:25]
	s_wait_dscnt 0x0
	s_delay_alu instid0(VALU_DEP_1) | instskip(SKIP_2) | instid1(VALU_DEP_2)
	v_fma_f64 v[12:13], v[0:1], -0.5, v[8:9]
	v_add_f64_e32 v[0:1], v[22:23], v[26:27]
	v_add_f64_e32 v[8:9], v[8:9], v[20:21]
	v_fma_f64 v[14:15], v[0:1], -0.5, v[10:11]
	v_add_f64_e32 v[0:1], v[10:11], v[22:23]
	v_add_f64_e64 v[10:11], v[22:23], -v[26:27]
	s_delay_alu instid0(VALU_DEP_2) | instskip(SKIP_2) | instid1(VALU_DEP_4)
	v_add_f64_e32 v[2:3], v[0:1], v[26:27]
	v_add_f64_e32 v[0:1], v[8:9], v[24:25]
	;; [unrolled: 1-line block ×3, first 2 shown]
	v_fma_f64 v[8:9], v[10:11], s[12:13], v[12:13]
	v_fma_f64 v[12:13], v[10:11], s[14:15], v[12:13]
	;; [unrolled: 1-line block ×4, first 2 shown]
	ds_load_b128 v[16:19], v148 offset:1440
	ds_load_b128 v[20:23], v148 offset:2880
	s_wait_dscnt 0x1
	v_fma_f64 v[26:27], v[24:25], -0.5, v[16:17]
	v_add_f64_e32 v[24:25], v[30:31], v[34:35]
	v_add_f64_e32 v[16:17], v[16:17], v[28:29]
	s_delay_alu instid0(VALU_DEP_2) | instskip(SKIP_2) | instid1(VALU_DEP_4)
	v_fma_f64 v[44:45], v[24:25], -0.5, v[18:19]
	v_add_f64_e32 v[18:19], v[18:19], v[30:31]
	v_add_f64_e64 v[30:31], v[30:31], -v[34:35]
	v_add_f64_e32 v[16:17], v[16:17], v[32:33]
	v_add_f64_e64 v[32:33], v[28:29], -v[32:33]
	s_delay_alu instid0(VALU_DEP_4) | instskip(NEXT) | instid1(VALU_DEP_4)
	v_add_f64_e32 v[18:19], v[18:19], v[34:35]
	v_fma_f64 v[24:25], v[30:31], s[12:13], v[26:27]
	v_fma_f64 v[28:29], v[30:31], s[14:15], v[26:27]
	s_delay_alu instid0(VALU_DEP_4) | instskip(SKIP_3) | instid1(VALU_DEP_1)
	v_fma_f64 v[26:27], v[32:33], s[14:15], v[44:45]
	v_fma_f64 v[30:31], v[32:33], s[12:13], v[44:45]
	v_add_f64_e32 v[32:33], v[36:37], v[40:41]
	s_wait_dscnt 0x0
	v_fma_f64 v[34:35], v[32:33], -0.5, v[20:21]
	v_add_f64_e32 v[32:33], v[38:39], v[42:43]
	v_add_f64_e32 v[20:21], v[20:21], v[36:37]
	s_delay_alu instid0(VALU_DEP_2) | instskip(SKIP_2) | instid1(VALU_DEP_4)
	v_fma_f64 v[44:45], v[32:33], -0.5, v[22:23]
	v_add_f64_e32 v[22:23], v[22:23], v[38:39]
	v_add_f64_e64 v[38:39], v[38:39], -v[42:43]
	v_add_f64_e32 v[20:21], v[20:21], v[40:41]
	v_add_f64_e64 v[40:41], v[36:37], -v[40:41]
	s_delay_alu instid0(VALU_DEP_4) | instskip(NEXT) | instid1(VALU_DEP_4)
	v_add_f64_e32 v[22:23], v[22:23], v[42:43]
	v_fma_f64 v[32:33], v[38:39], s[12:13], v[34:35]
	v_fma_f64 v[36:37], v[38:39], s[14:15], v[34:35]
	s_delay_alu instid0(VALU_DEP_4)
	v_fma_f64 v[34:35], v[40:41], s[14:15], v[44:45]
	v_fma_f64 v[38:39], v[40:41], s[12:13], v[44:45]
	ds_load_b128 v[40:43], v148 offset:4320
	ds_load_b128 v[44:47], v148 offset:5760
	s_wait_dscnt 0x1
	v_fma_f64 v[66:67], v[66:67], -0.5, v[42:43]
	v_add_f64_e32 v[42:43], v[42:43], v[50:51]
	v_fma_f64 v[64:65], v[64:65], -0.5, v[40:41]
	v_add_f64_e32 v[40:41], v[40:41], v[48:49]
	v_add_f64_e64 v[50:51], v[50:51], -v[54:55]
	s_delay_alu instid0(VALU_DEP_4) | instskip(SKIP_1) | instid1(VALU_DEP_4)
	v_add_f64_e32 v[42:43], v[42:43], v[54:55]
	v_add_f64_e64 v[54:55], v[48:49], -v[52:53]
	v_add_f64_e32 v[40:41], v[40:41], v[52:53]
	s_delay_alu instid0(VALU_DEP_4)
	v_fma_f64 v[48:49], v[50:51], s[12:13], v[64:65]
	v_fma_f64 v[52:53], v[50:51], s[14:15], v[64:65]
	v_add_f64_e32 v[64:65], v[56:57], v[60:61]
	v_fma_f64 v[50:51], v[54:55], s[14:15], v[66:67]
	v_fma_f64 v[54:55], v[54:55], s[12:13], v[66:67]
	v_add_f64_e32 v[66:67], v[58:59], v[62:63]
	s_wait_dscnt 0x0
	s_delay_alu instid0(VALU_DEP_4) | instskip(SKIP_1) | instid1(VALU_DEP_3)
	v_fma_f64 v[64:65], v[64:65], -0.5, v[44:45]
	v_add_f64_e32 v[44:45], v[44:45], v[56:57]
	v_fma_f64 v[66:67], v[66:67], -0.5, v[46:47]
	v_add_f64_e32 v[46:47], v[46:47], v[58:59]
	v_add_f64_e64 v[58:59], v[58:59], -v[62:63]
	s_delay_alu instid0(VALU_DEP_4) | instskip(NEXT) | instid1(VALU_DEP_3)
	v_add_f64_e32 v[44:45], v[44:45], v[60:61]
	v_add_f64_e32 v[46:47], v[46:47], v[62:63]
	v_add_f64_e64 v[62:63], v[56:57], -v[60:61]
	s_delay_alu instid0(VALU_DEP_4) | instskip(SKIP_1) | instid1(VALU_DEP_3)
	v_fma_f64 v[56:57], v[58:59], s[12:13], v[64:65]
	v_fma_f64 v[60:61], v[58:59], s[14:15], v[64:65]
	;; [unrolled: 1-line block ×4, first 2 shown]
	ds_load_b128 v[64:67], v148 offset:7200
	ds_load_b128 v[68:71], v148 offset:8640
	s_wait_dscnt 0x1
	v_fma_f64 v[90:91], v[90:91], -0.5, v[66:67]
	v_add_f64_e32 v[66:67], v[66:67], v[74:75]
	v_fma_f64 v[88:89], v[88:89], -0.5, v[64:65]
	v_add_f64_e32 v[64:65], v[64:65], v[72:73]
	v_add_f64_e64 v[74:75], v[74:75], -v[78:79]
	s_delay_alu instid0(VALU_DEP_4) | instskip(SKIP_1) | instid1(VALU_DEP_4)
	v_add_f64_e32 v[66:67], v[66:67], v[78:79]
	v_add_f64_e64 v[78:79], v[72:73], -v[76:77]
	v_add_f64_e32 v[64:65], v[64:65], v[76:77]
	s_delay_alu instid0(VALU_DEP_4)
	v_fma_f64 v[72:73], v[74:75], s[12:13], v[88:89]
	v_fma_f64 v[76:77], v[74:75], s[14:15], v[88:89]
	v_add_f64_e32 v[88:89], v[80:81], v[84:85]
	v_fma_f64 v[74:75], v[78:79], s[14:15], v[90:91]
	v_fma_f64 v[78:79], v[78:79], s[12:13], v[90:91]
	v_add_f64_e32 v[90:91], v[82:83], v[86:87]
	s_wait_dscnt 0x0
	s_delay_alu instid0(VALU_DEP_4) | instskip(SKIP_1) | instid1(VALU_DEP_3)
	v_fma_f64 v[88:89], v[88:89], -0.5, v[68:69]
	v_add_f64_e32 v[68:69], v[68:69], v[80:81]
	v_fma_f64 v[90:91], v[90:91], -0.5, v[70:71]
	v_add_f64_e32 v[70:71], v[70:71], v[82:83]
	v_add_f64_e64 v[82:83], v[82:83], -v[86:87]
	s_delay_alu instid0(VALU_DEP_4) | instskip(NEXT) | instid1(VALU_DEP_3)
	v_add_f64_e32 v[68:69], v[68:69], v[84:85]
	v_add_f64_e32 v[70:71], v[70:71], v[86:87]
	v_add_f64_e64 v[86:87], v[80:81], -v[84:85]
	s_delay_alu instid0(VALU_DEP_4) | instskip(SKIP_1) | instid1(VALU_DEP_3)
	v_fma_f64 v[80:81], v[82:83], s[12:13], v[88:89]
	v_fma_f64 v[84:85], v[82:83], s[14:15], v[88:89]
	;; [unrolled: 1-line block ×4, first 2 shown]
	ds_load_b128 v[88:91], v148 offset:10080
	ds_load_b128 v[92:95], v148 offset:11520
	s_wait_dscnt 0x1
	v_fma_f64 v[122:123], v[122:123], -0.5, v[90:91]
	v_add_f64_e32 v[90:91], v[90:91], v[98:99]
	v_fma_f64 v[120:121], v[120:121], -0.5, v[88:89]
	v_add_f64_e32 v[88:89], v[88:89], v[96:97]
	v_add_f64_e64 v[98:99], v[98:99], -v[102:103]
	s_delay_alu instid0(VALU_DEP_4) | instskip(SKIP_1) | instid1(VALU_DEP_4)
	v_add_f64_e32 v[90:91], v[90:91], v[102:103]
	v_add_f64_e64 v[102:103], v[96:97], -v[100:101]
	v_add_f64_e32 v[88:89], v[88:89], v[100:101]
	s_delay_alu instid0(VALU_DEP_4)
	v_fma_f64 v[96:97], v[98:99], s[12:13], v[120:121]
	v_fma_f64 v[100:101], v[98:99], s[14:15], v[120:121]
	v_add_f64_e32 v[120:121], v[104:105], v[108:109]
	v_fma_f64 v[98:99], v[102:103], s[14:15], v[122:123]
	v_fma_f64 v[102:103], v[102:103], s[12:13], v[122:123]
	v_add_f64_e32 v[122:123], v[106:107], v[110:111]
	s_wait_dscnt 0x0
	s_delay_alu instid0(VALU_DEP_4) | instskip(SKIP_1) | instid1(VALU_DEP_3)
	v_fma_f64 v[120:121], v[120:121], -0.5, v[92:93]
	v_add_f64_e32 v[92:93], v[92:93], v[104:105]
	v_fma_f64 v[122:123], v[122:123], -0.5, v[94:95]
	v_add_f64_e32 v[94:95], v[94:95], v[106:107]
	v_add_f64_e64 v[106:107], v[106:107], -v[110:111]
	s_delay_alu instid0(VALU_DEP_4) | instskip(NEXT) | instid1(VALU_DEP_3)
	v_add_f64_e32 v[92:93], v[92:93], v[108:109]
	v_add_f64_e32 v[94:95], v[94:95], v[110:111]
	v_add_f64_e64 v[110:111], v[104:105], -v[108:109]
	s_delay_alu instid0(VALU_DEP_4) | instskip(SKIP_2) | instid1(VALU_DEP_4)
	v_fma_f64 v[104:105], v[106:107], s[12:13], v[120:121]
	v_fma_f64 v[108:109], v[106:107], s[14:15], v[120:121]
	v_add_f64_e32 v[120:121], v[112:113], v[116:117]
	v_fma_f64 v[106:107], v[110:111], s[14:15], v[122:123]
	v_fma_f64 v[110:111], v[110:111], s[12:13], v[122:123]
	v_add_f64_e32 v[122:123], v[114:115], v[118:119]
	s_delay_alu instid0(VALU_DEP_4) | instskip(SKIP_1) | instid1(VALU_DEP_3)
	v_fma_f64 v[120:121], v[120:121], -0.5, v[4:5]
	v_add_f64_e32 v[4:5], v[4:5], v[112:113]
	v_fma_f64 v[122:123], v[122:123], -0.5, v[6:7]
	v_add_f64_e32 v[6:7], v[6:7], v[114:115]
	v_add_f64_e64 v[114:115], v[114:115], -v[118:119]
	s_delay_alu instid0(VALU_DEP_4) | instskip(NEXT) | instid1(VALU_DEP_3)
	v_add_f64_e32 v[4:5], v[4:5], v[116:117]
	v_add_f64_e32 v[6:7], v[6:7], v[118:119]
	v_add_f64_e64 v[118:119], v[112:113], -v[116:117]
	s_delay_alu instid0(VALU_DEP_4) | instskip(SKIP_1) | instid1(VALU_DEP_3)
	v_fma_f64 v[112:113], v[114:115], s[12:13], v[120:121]
	v_fma_f64 v[116:117], v[114:115], s[14:15], v[120:121]
	;; [unrolled: 1-line block ×4, first 2 shown]
	ds_store_b128 v148, v[0:3]
	ds_store_b128 v148, v[16:19] offset:1440
	ds_store_b128 v148, v[20:23] offset:2880
	;; [unrolled: 1-line block ×29, first 2 shown]
	global_wb scope:SCOPE_SE
	s_wait_dscnt 0x0
	s_barrier_signal -1
	s_barrier_wait -1
	global_inv scope:SCOPE_SE
	ds_load_b128 v[0:3], v148
	ds_load_b128 v[4:7], v148 offset:41760
	scratch_load_b128 v[10:13], off, off offset:188 th:TH_LOAD_LU ; 16-byte Folded Reload
	s_wait_loadcnt_dscnt 0x1
	v_mul_f64_e32 v[8:9], v[12:13], v[2:3]
	s_delay_alu instid0(VALU_DEP_1) | instskip(SKIP_1) | instid1(VALU_DEP_1)
	v_fma_f64 v[28:29], v[10:11], v[0:1], v[8:9]
	v_mul_f64_e32 v[0:1], v[12:13], v[0:1]
	v_fma_f64 v[30:31], v[10:11], v[2:3], -v[0:1]
	ds_load_b128 v[0:3], v148 offset:14400
	ds_load_b128 v[8:11], v148 offset:12960
	scratch_load_b128 v[14:17], off, off offset:172 th:TH_LOAD_LU ; 16-byte Folded Reload
	s_wait_loadcnt_dscnt 0x1
	v_mul_f64_e32 v[12:13], v[16:17], v[2:3]
	s_delay_alu instid0(VALU_DEP_1) | instskip(SKIP_1) | instid1(VALU_DEP_1)
	v_fma_f64 v[32:33], v[14:15], v[0:1], v[12:13]
	v_mul_f64_e32 v[0:1], v[16:17], v[0:1]
	v_fma_f64 v[34:35], v[14:15], v[2:3], -v[0:1]
	ds_load_b128 v[0:3], v148 offset:28800
	;; [unrolled: 9-line block ×5, first 2 shown]
	ds_load_b128 v[24:27], v148 offset:31680
	s_clause 0x1
	scratch_load_b128 v[50:53], off, off offset:44 th:TH_LOAD_LU
	scratch_load_b128 v[54:57], off, off offset:60 th:TH_LOAD_LU
	s_wait_loadcnt_dscnt 0x101
	v_mul_f64_e32 v[48:49], v[52:53], v[2:3]
	s_delay_alu instid0(VALU_DEP_1) | instskip(SKIP_1) | instid1(VALU_DEP_1)
	v_fma_f64 v[48:49], v[50:51], v[0:1], v[48:49]
	v_mul_f64_e32 v[0:1], v[52:53], v[0:1]
	v_fma_f64 v[50:51], v[50:51], v[2:3], -v[0:1]
	s_wait_loadcnt 0x0
	v_mul_f64_e32 v[0:1], v[56:57], v[18:19]
	s_delay_alu instid0(VALU_DEP_1) | instskip(SKIP_1) | instid1(VALU_DEP_1)
	v_fma_f64 v[52:53], v[54:55], v[16:17], v[0:1]
	v_mul_f64_e32 v[0:1], v[56:57], v[16:17]
	v_fma_f64 v[54:55], v[54:55], v[18:19], -v[0:1]
	scratch_load_b128 v[16:19], off, off offset:76 th:TH_LOAD_LU ; 16-byte Folded Reload
	s_wait_loadcnt 0x0
	v_mul_f64_e32 v[0:1], v[18:19], v[22:23]
	s_delay_alu instid0(VALU_DEP_1) | instskip(SKIP_1) | instid1(VALU_DEP_1)
	v_fma_f64 v[56:57], v[16:17], v[20:21], v[0:1]
	v_mul_f64_e32 v[0:1], v[18:19], v[20:21]
	v_fma_f64 v[58:59], v[16:17], v[22:23], -v[0:1]
	scratch_load_b128 v[16:19], off, off offset:92 th:TH_LOAD_LU ; 16-byte Folded Reload
	s_wait_loadcnt_dscnt 0x0
	v_mul_f64_e32 v[0:1], v[18:19], v[26:27]
	s_delay_alu instid0(VALU_DEP_1) | instskip(SKIP_1) | instid1(VALU_DEP_1)
	v_fma_f64 v[60:61], v[16:17], v[24:25], v[0:1]
	v_mul_f64_e32 v[0:1], v[18:19], v[24:25]
	v_fma_f64 v[62:63], v[16:17], v[26:27], -v[0:1]
	ds_load_b128 v[0:3], v148 offset:4320
	ds_load_b128 v[16:19], v148 offset:5760
	scratch_load_b128 v[22:25], off, off offset:12 th:TH_LOAD_LU ; 16-byte Folded Reload
	s_wait_loadcnt_dscnt 0x1
	v_mul_f64_e32 v[20:21], v[24:25], v[2:3]
	s_delay_alu instid0(VALU_DEP_1) | instskip(SKIP_1) | instid1(VALU_DEP_1)
	v_fma_f64 v[64:65], v[22:23], v[0:1], v[20:21]
	v_mul_f64_e32 v[0:1], v[24:25], v[0:1]
	v_fma_f64 v[66:67], v[22:23], v[2:3], -v[0:1]
	ds_load_b128 v[0:3], v148 offset:18720
	ds_load_b128 v[20:23], v148 offset:20160
	scratch_load_b128 v[70:73], off, off offset:108 th:TH_LOAD_LU ; 16-byte Folded Reload
	s_wait_loadcnt_dscnt 0x1
	v_mul_f64_e32 v[24:25], v[72:73], v[2:3]
	s_delay_alu instid0(VALU_DEP_1) | instskip(SKIP_1) | instid1(VALU_DEP_1)
	v_fma_f64 v[68:69], v[70:71], v[0:1], v[24:25]
	v_mul_f64_e32 v[0:1], v[72:73], v[0:1]
	v_fma_f64 v[70:71], v[70:71], v[2:3], -v[0:1]
	ds_load_b128 v[0:3], v148 offset:33120
	ds_load_b128 v[24:27], v148 offset:34560
	s_clause 0x1
	scratch_load_b128 v[74:77], off, off offset:28 th:TH_LOAD_LU
	scratch_load_b128 v[78:81], off, off offset:204 th:TH_LOAD_LU
	s_wait_loadcnt_dscnt 0x101
	v_mul_f64_e32 v[72:73], v[76:77], v[2:3]
	s_delay_alu instid0(VALU_DEP_1) | instskip(SKIP_1) | instid1(VALU_DEP_1)
	v_fma_f64 v[72:73], v[74:75], v[0:1], v[72:73]
	v_mul_f64_e32 v[0:1], v[76:77], v[0:1]
	v_fma_f64 v[74:75], v[74:75], v[2:3], -v[0:1]
	s_wait_loadcnt 0x0
	v_mul_f64_e32 v[0:1], v[80:81], v[18:19]
	s_delay_alu instid0(VALU_DEP_1) | instskip(SKIP_1) | instid1(VALU_DEP_1)
	v_fma_f64 v[76:77], v[78:79], v[16:17], v[0:1]
	v_mul_f64_e32 v[0:1], v[80:81], v[16:17]
	v_fma_f64 v[78:79], v[78:79], v[18:19], -v[0:1]
	scratch_load_b128 v[16:19], off, off offset:220 th:TH_LOAD_LU ; 16-byte Folded Reload
	s_wait_loadcnt 0x0
	v_mul_f64_e32 v[0:1], v[18:19], v[22:23]
	s_delay_alu instid0(VALU_DEP_1) | instskip(SKIP_1) | instid1(VALU_DEP_1)
	v_fma_f64 v[80:81], v[16:17], v[20:21], v[0:1]
	v_mul_f64_e32 v[0:1], v[18:19], v[20:21]
	v_fma_f64 v[82:83], v[16:17], v[22:23], -v[0:1]
	scratch_load_b128 v[16:19], off, off offset:236 th:TH_LOAD_LU ; 16-byte Folded Reload
	s_wait_loadcnt_dscnt 0x0
	v_mul_f64_e32 v[0:1], v[18:19], v[26:27]
	s_delay_alu instid0(VALU_DEP_1) | instskip(SKIP_1) | instid1(VALU_DEP_1)
	v_fma_f64 v[84:85], v[16:17], v[24:25], v[0:1]
	v_mul_f64_e32 v[0:1], v[18:19], v[24:25]
	v_fma_f64 v[86:87], v[16:17], v[26:27], -v[0:1]
	ds_load_b128 v[0:3], v148 offset:7200
	ds_load_b128 v[16:19], v148 offset:8640
	scratch_load_b128 v[22:25], off, off offset:252 th:TH_LOAD_LU ; 16-byte Folded Reload
	s_wait_loadcnt_dscnt 0x1
	v_mul_f64_e32 v[20:21], v[24:25], v[2:3]
	s_delay_alu instid0(VALU_DEP_1) | instskip(SKIP_1) | instid1(VALU_DEP_1)
	v_fma_f64 v[88:89], v[22:23], v[0:1], v[20:21]
	v_mul_f64_e32 v[0:1], v[24:25], v[0:1]
	v_fma_f64 v[90:91], v[22:23], v[2:3], -v[0:1]
	ds_load_b128 v[0:3], v148 offset:21600
	ds_load_b128 v[20:23], v148 offset:23040
	scratch_load_b128 v[94:97], off, off offset:268 th:TH_LOAD_LU ; 16-byte Folded Reload
	s_wait_loadcnt_dscnt 0x1
	v_mul_f64_e32 v[24:25], v[96:97], v[2:3]
	s_delay_alu instid0(VALU_DEP_1) | instskip(SKIP_1) | instid1(VALU_DEP_1)
	v_fma_f64 v[92:93], v[94:95], v[0:1], v[24:25]
	v_mul_f64_e32 v[0:1], v[96:97], v[0:1]
	v_fma_f64 v[94:95], v[94:95], v[2:3], -v[0:1]
	ds_load_b128 v[0:3], v148 offset:36000
	;; [unrolled: 49-line block ×3, first 2 shown]
	ds_load_b128 v[24:27], v148 offset:40320
	s_clause 0x1
	scratch_load_b128 v[122:125], off, off offset:396 th:TH_LOAD_LU
	scratch_load_b128 v[126:129], off, off offset:412 th:TH_LOAD_LU
	s_wait_loadcnt_dscnt 0x101
	v_mul_f64_e32 v[120:121], v[124:125], v[2:3]
	s_delay_alu instid0(VALU_DEP_1) | instskip(SKIP_1) | instid1(VALU_DEP_1)
	v_fma_f64 v[120:121], v[122:123], v[0:1], v[120:121]
	v_mul_f64_e32 v[0:1], v[124:125], v[0:1]
	v_fma_f64 v[122:123], v[122:123], v[2:3], -v[0:1]
	s_wait_loadcnt 0x0
	v_mul_f64_e32 v[0:1], v[128:129], v[18:19]
	scratch_load_b64 v[2:3], off, off offset:4 th:TH_LOAD_LU ; 8-byte Folded Reload
	v_fma_f64 v[124:125], v[126:127], v[16:17], v[0:1]
	v_mul_f64_e32 v[0:1], v[128:129], v[16:17]
	s_delay_alu instid0(VALU_DEP_1) | instskip(SKIP_3) | instid1(VALU_DEP_1)
	v_fma_f64 v[126:127], v[126:127], v[18:19], -v[0:1]
	scratch_load_b128 v[16:19], off, off offset:428 th:TH_LOAD_LU ; 16-byte Folded Reload
	s_wait_loadcnt 0x0
	v_mul_f64_e32 v[0:1], v[18:19], v[22:23]
	v_fma_f64 v[128:129], v[16:17], v[20:21], v[0:1]
	v_mul_f64_e32 v[0:1], v[18:19], v[20:21]
	s_delay_alu instid0(VALU_DEP_1) | instskip(SKIP_3) | instid1(VALU_DEP_1)
	v_fma_f64 v[130:131], v[16:17], v[22:23], -v[0:1]
	scratch_load_b128 v[16:19], off, off offset:444 th:TH_LOAD_LU ; 16-byte Folded Reload
	s_wait_loadcnt_dscnt 0x0
	v_mul_f64_e32 v[0:1], v[18:19], v[26:27]
	v_fma_f64 v[132:133], v[16:17], v[24:25], v[0:1]
	v_mul_f64_e32 v[0:1], v[18:19], v[24:25]
	s_delay_alu instid0(VALU_DEP_1) | instskip(SKIP_3) | instid1(VALU_DEP_1)
	v_fma_f64 v[134:135], v[16:17], v[26:27], -v[0:1]
	scratch_load_b128 v[16:19], off, off offset:460 th:TH_LOAD_LU ; 16-byte Folded Reload
	s_wait_loadcnt 0x0
	v_mul_f64_e32 v[0:1], v[18:19], v[10:11]
	v_fma_f64 v[136:137], v[16:17], v[8:9], v[0:1]
	v_mul_f64_e32 v[0:1], v[18:19], v[8:9]
	s_delay_alu instid0(VALU_DEP_1) | instskip(SKIP_3) | instid1(VALU_DEP_1)
	v_fma_f64 v[138:139], v[16:17], v[10:11], -v[0:1]
	scratch_load_b128 v[8:11], off, off offset:476 th:TH_LOAD_LU ; 16-byte Folded Reload
	s_wait_loadcnt 0x0
	v_mul_f64_e32 v[0:1], v[10:11], v[14:15]
	v_fma_f64 v[140:141], v[8:9], v[12:13], v[0:1]
	v_mul_f64_e32 v[0:1], v[10:11], v[12:13]
	s_delay_alu instid0(VALU_DEP_1) | instskip(SKIP_2) | instid1(VALU_DEP_1)
	v_fma_f64 v[142:143], v[8:9], v[14:15], -v[0:1]
	scratch_load_b32 v8, off, off th:TH_LOAD_LU ; 4-byte Folded Reload
	v_mad_co_u64_u32 v[0:1], null, s6, v2, 0
	v_mad_co_u64_u32 v[1:2], null, s7, v2, v[1:2]
	s_mov_b32 s6, 0xa0ce5129
	s_mov_b32 s7, 0x3f3845c8
	s_wait_alu 0xfffe
	v_mul_f64_e32 v[10:11], s[6:7], v[46:47]
	v_mul_f64_e32 v[12:13], s[6:7], v[48:49]
	;; [unrolled: 1-line block ×3, first 2 shown]
	s_delay_alu instid0(VALU_DEP_4)
	v_lshlrev_b64_e32 v[0:1], 4, v[0:1]
	v_mul_f64_e32 v[16:17], s[6:7], v[52:53]
	v_mul_f64_e32 v[18:19], s[6:7], v[54:55]
	;; [unrolled: 1-line block ×5, first 2 shown]
	s_wait_loadcnt 0x0
	v_mad_co_u64_u32 v[2:3], null, s4, v8, 0
	s_delay_alu instid0(VALU_DEP_1) | instskip(NEXT) | instid1(VALU_DEP_1)
	v_mad_co_u64_u32 v[8:9], null, s5, v8, v[3:4]
	v_mov_b32_e32 v3, v8
	v_add_co_u32 v8, vcc_lo, s0, v0
	s_wait_alu 0xfffd
	v_add_co_ci_u32_e32 v9, vcc_lo, s1, v1, vcc_lo
	s_delay_alu instid0(VALU_DEP_3) | instskip(SKIP_3) | instid1(VALU_DEP_3)
	v_lshlrev_b64_e32 v[0:1], 4, v[2:3]
	v_mul_f64_e32 v[2:3], s[6:7], v[30:31]
	s_mul_u64 s[0:1], s[4:5], 0x3840
	v_mul_f64_e32 v[30:31], s[6:7], v[86:87]
	v_add_co_u32 v8, vcc_lo, v8, v0
	s_wait_alu 0xfffd
	v_add_co_ci_u32_e32 v9, vcc_lo, v9, v1, vcc_lo
	v_mul_f64_e32 v[0:1], s[6:7], v[28:29]
	v_mul_f64_e32 v[28:29], s[6:7], v[84:85]
	global_store_b128 v[8:9], v[0:3], off
	v_mul_f64_e32 v[0:1], s[6:7], v[32:33]
	v_mul_f64_e32 v[2:3], s[6:7], v[34:35]
	s_wait_alu 0xfffe
	v_add_co_u32 v8, vcc_lo, v8, s0
	s_wait_alu 0xfffd
	v_add_co_ci_u32_e32 v9, vcc_lo, s1, v9, vcc_lo
	v_mul_f64_e32 v[32:33], s[6:7], v[88:89]
	s_delay_alu instid0(VALU_DEP_3) | instskip(SKIP_1) | instid1(VALU_DEP_3)
	v_add_co_u32 v24, vcc_lo, v8, s0
	s_wait_alu 0xfffd
	v_add_co_ci_u32_e32 v25, vcc_lo, s1, v9, vcc_lo
	v_mul_f64_e32 v[34:35], s[6:7], v[90:91]
	global_store_b128 v[8:9], v[0:3], off
	v_mul_f64_e32 v[0:1], s[6:7], v[36:37]
	v_mul_f64_e32 v[2:3], s[6:7], v[38:39]
	;; [unrolled: 1-line block ×6, first 2 shown]
	global_store_b128 v[24:25], v[0:3], off
	v_mul_f64_e32 v[0:1], s[6:7], v[40:41]
	v_mul_f64_e32 v[2:3], s[6:7], v[42:43]
	v_add_co_u32 v24, vcc_lo, v24, s2
	s_wait_alu 0xfffd
	v_add_co_ci_u32_e32 v25, vcc_lo, s3, v25, vcc_lo
	v_mul_f64_e32 v[40:41], s[6:7], v[96:97]
	s_delay_alu instid0(VALU_DEP_3) | instskip(SKIP_1) | instid1(VALU_DEP_3)
	v_add_co_u32 v26, vcc_lo, v24, s0
	s_wait_alu 0xfffd
	v_add_co_ci_u32_e32 v27, vcc_lo, s1, v25, vcc_lo
	v_mul_f64_e32 v[42:43], s[6:7], v[98:99]
	global_store_b128 v[24:25], v[0:3], off
	v_add_co_u32 v0, vcc_lo, v26, s0
	s_wait_alu 0xfffd
	v_add_co_ci_u32_e32 v1, vcc_lo, s1, v27, vcc_lo
	s_delay_alu instid0(VALU_DEP_2) | instskip(SKIP_1) | instid1(VALU_DEP_2)
	v_add_co_u32 v2, vcc_lo, v0, s2
	s_wait_alu 0xfffd
	v_add_co_ci_u32_e32 v3, vcc_lo, s3, v1, vcc_lo
	s_delay_alu instid0(VALU_DEP_2) | instskip(SKIP_1) | instid1(VALU_DEP_2)
	v_add_co_u32 v24, vcc_lo, v2, s0
	s_wait_alu 0xfffd
	v_add_co_ci_u32_e32 v25, vcc_lo, s1, v3, vcc_lo
	global_store_b128 v[26:27], v[8:11], off
	global_store_b128 v[0:1], v[12:15], off
	;; [unrolled: 1-line block ×4, first 2 shown]
	v_mul_f64_e32 v[0:1], s[6:7], v[60:61]
	v_mul_f64_e32 v[2:3], s[6:7], v[62:63]
	scratch_load_b128 v[60:63], off, off offset:316 th:TH_LOAD_LU ; 16-byte Folded Reload
	v_mul_f64_e32 v[8:9], s[6:7], v[64:65]
	v_mul_f64_e32 v[10:11], s[6:7], v[66:67]
	v_add_co_u32 v48, vcc_lo, v24, s0
	s_wait_alu 0xfffd
	v_add_co_ci_u32_e32 v49, vcc_lo, s1, v25, vcc_lo
	v_mul_f64_e32 v[12:13], s[6:7], v[68:69]
	s_delay_alu instid0(VALU_DEP_3) | instskip(SKIP_1) | instid1(VALU_DEP_3)
	v_add_co_u32 v50, vcc_lo, v48, s2
	s_wait_alu 0xfffd
	v_add_co_ci_u32_e32 v51, vcc_lo, s3, v49, vcc_lo
	v_mul_f64_e32 v[14:15], s[6:7], v[70:71]
	s_delay_alu instid0(VALU_DEP_3) | instskip(SKIP_1) | instid1(VALU_DEP_3)
	v_add_co_u32 v52, vcc_lo, v50, s0
	s_wait_alu 0xfffd
	v_add_co_ci_u32_e32 v53, vcc_lo, s1, v51, vcc_lo
	v_mul_f64_e32 v[16:17], s[6:7], v[72:73]
	v_mul_f64_e32 v[18:19], s[6:7], v[74:75]
	v_add_co_u32 v54, vcc_lo, v52, s0
	v_mul_f64_e32 v[20:21], s[6:7], v[76:77]
	v_mul_f64_e32 v[22:23], s[6:7], v[78:79]
	;; [unrolled: 1-line block ×4, first 2 shown]
	s_wait_alu 0xfffd
	v_add_co_ci_u32_e32 v55, vcc_lo, s1, v53, vcc_lo
	global_store_b128 v[48:49], v[0:3], off
	global_store_b128 v[50:51], v[8:11], off
	;; [unrolled: 1-line block ×4, first 2 shown]
	v_mul_f64_e32 v[16:17], s[6:7], v[120:121]
	v_mul_f64_e32 v[18:19], s[6:7], v[122:123]
	s_wait_loadcnt 0x0
	v_mul_f64_e32 v[56:57], v[62:63], v[6:7]
	v_mul_f64_e32 v[58:59], v[62:63], v[4:5]
	v_dual_mov_b32 v63, v61 :: v_dual_mov_b32 v62, v60
	v_add_co_u32 v60, vcc_lo, v54, s2
	s_wait_alu 0xfffd
	v_add_co_ci_u32_e32 v61, vcc_lo, s3, v55, vcc_lo
	s_delay_alu instid0(VALU_DEP_2) | instskip(SKIP_1) | instid1(VALU_DEP_2)
	v_add_co_u32 v0, vcc_lo, v60, s0
	s_wait_alu 0xfffd
	v_add_co_ci_u32_e32 v1, vcc_lo, s1, v61, vcc_lo
	global_store_b128 v[60:61], v[20:23], off
	v_add_co_u32 v2, vcc_lo, v0, s0
	s_wait_alu 0xfffd
	v_add_co_ci_u32_e32 v3, vcc_lo, s1, v1, vcc_lo
	global_store_b128 v[0:1], v[24:27], off
	v_add_co_u32 v8, vcc_lo, v2, s2
	s_wait_alu 0xfffd
	v_add_co_ci_u32_e32 v9, vcc_lo, s3, v3, vcc_lo
	v_mul_f64_e32 v[0:1], s[6:7], v[104:105]
	s_delay_alu instid0(VALU_DEP_3) | instskip(SKIP_1) | instid1(VALU_DEP_3)
	v_add_co_u32 v10, vcc_lo, v8, s0
	s_wait_alu 0xfffd
	v_add_co_ci_u32_e32 v11, vcc_lo, s1, v9, vcc_lo
	v_mul_f64_e32 v[20:21], s[6:7], v[124:125]
	s_delay_alu instid0(VALU_DEP_3) | instskip(SKIP_1) | instid1(VALU_DEP_3)
	;; [unrolled: 5-line block ×3, first 2 shown]
	v_add_co_u32 v14, vcc_lo, v12, s2
	s_wait_alu 0xfffd
	v_add_co_ci_u32_e32 v15, vcc_lo, s3, v13, vcc_lo
	global_store_b128 v[2:3], v[28:31], off
	global_store_b128 v[8:9], v[32:35], off
	;; [unrolled: 1-line block ×5, first 2 shown]
	v_fma_f64 v[40:41], v[62:63], v[4:5], v[56:57]
	v_fma_f64 v[42:43], v[62:63], v[6:7], -v[58:59]
	v_mul_f64_e32 v[2:3], s[6:7], v[106:107]
	v_mul_f64_e32 v[4:5], s[6:7], v[108:109]
	;; [unrolled: 1-line block ×3, first 2 shown]
	v_add_co_u32 v44, vcc_lo, v14, s0
	s_wait_alu 0xfffd
	v_add_co_ci_u32_e32 v45, vcc_lo, s1, v15, vcc_lo
	v_mul_f64_e32 v[8:9], s[6:7], v[112:113]
	s_delay_alu instid0(VALU_DEP_3) | instskip(SKIP_1) | instid1(VALU_DEP_3)
	v_add_co_u32 v46, vcc_lo, v44, s0
	s_wait_alu 0xfffd
	v_add_co_ci_u32_e32 v47, vcc_lo, s1, v45, vcc_lo
	v_mul_f64_e32 v[10:11], s[6:7], v[114:115]
	s_delay_alu instid0(VALU_DEP_3) | instskip(SKIP_1) | instid1(VALU_DEP_3)
	v_add_co_u32 v48, vcc_lo, v46, s2
	s_wait_alu 0xfffd
	v_add_co_ci_u32_e32 v49, vcc_lo, s3, v47, vcc_lo
	v_mul_f64_e32 v[12:13], s[6:7], v[116:117]
	v_mul_f64_e32 v[14:15], s[6:7], v[118:119]
	v_add_co_u32 v50, vcc_lo, v48, s0
	v_mul_f64_e32 v[24:25], s[6:7], v[128:129]
	v_mul_f64_e32 v[26:27], s[6:7], v[130:131]
	v_mul_f64_e32 v[28:29], s[6:7], v[132:133]
	v_mul_f64_e32 v[30:31], s[6:7], v[134:135]
	s_wait_alu 0xfffd
	v_add_co_ci_u32_e32 v51, vcc_lo, s1, v49, vcc_lo
	v_mul_f64_e32 v[32:33], s[6:7], v[136:137]
	v_mul_f64_e32 v[34:35], s[6:7], v[138:139]
	;; [unrolled: 1-line block ×4, first 2 shown]
	v_add_co_u32 v52, vcc_lo, v50, s0
	s_wait_alu 0xfffd
	v_add_co_ci_u32_e32 v53, vcc_lo, s1, v51, vcc_lo
	v_mul_f64_e32 v[40:41], s[6:7], v[40:41]
	v_mul_f64_e32 v[42:43], s[6:7], v[42:43]
	global_store_b128 v[44:45], v[0:3], off
	v_add_co_u32 v0, vcc_lo, v52, s2
	s_wait_alu 0xfffd
	v_add_co_ci_u32_e32 v1, vcc_lo, s3, v53, vcc_lo
	global_store_b128 v[46:47], v[4:7], off
	v_add_co_u32 v2, vcc_lo, v0, s0
	s_wait_alu 0xfffd
	v_add_co_ci_u32_e32 v3, vcc_lo, s1, v1, vcc_lo
	s_delay_alu instid0(VALU_DEP_2) | instskip(SKIP_1) | instid1(VALU_DEP_2)
	v_add_co_u32 v4, vcc_lo, v2, s0
	s_wait_alu 0xfffd
	v_add_co_ci_u32_e32 v5, vcc_lo, s1, v3, vcc_lo
	global_store_b128 v[48:49], v[8:11], off
	v_add_co_u32 v6, vcc_lo, v4, s2
	s_wait_alu 0xfffd
	v_add_co_ci_u32_e32 v7, vcc_lo, s3, v5, vcc_lo
	global_store_b128 v[50:51], v[12:15], off
	;; [unrolled: 4-line block ×3, first 2 shown]
	global_store_b128 v[0:1], v[20:23], off
	v_add_co_u32 v0, vcc_lo, v8, s0
	s_wait_alu 0xfffd
	v_add_co_ci_u32_e32 v1, vcc_lo, s1, v9, vcc_lo
	global_store_b128 v[2:3], v[24:27], off
	global_store_b128 v[4:5], v[28:31], off
	;; [unrolled: 1-line block ×5, first 2 shown]
.LBB0_2:
	s_nop 0
	s_sendmsg sendmsg(MSG_DEALLOC_VGPRS)
	s_endpgm
	.section	.rodata,"a",@progbits
	.p2align	6, 0x0
	.amdhsa_kernel bluestein_single_fwd_len2700_dim1_dp_op_CI_CI
		.amdhsa_group_segment_fixed_size 43200
		.amdhsa_private_segment_fixed_size 1760
		.amdhsa_kernarg_size 104
		.amdhsa_user_sgpr_count 2
		.amdhsa_user_sgpr_dispatch_ptr 0
		.amdhsa_user_sgpr_queue_ptr 0
		.amdhsa_user_sgpr_kernarg_segment_ptr 1
		.amdhsa_user_sgpr_dispatch_id 0
		.amdhsa_user_sgpr_private_segment_size 0
		.amdhsa_wavefront_size32 1
		.amdhsa_uses_dynamic_stack 0
		.amdhsa_enable_private_segment 1
		.amdhsa_system_sgpr_workgroup_id_x 1
		.amdhsa_system_sgpr_workgroup_id_y 0
		.amdhsa_system_sgpr_workgroup_id_z 0
		.amdhsa_system_sgpr_workgroup_info 0
		.amdhsa_system_vgpr_workitem_id 0
		.amdhsa_next_free_vgpr 256
		.amdhsa_next_free_sgpr 34
		.amdhsa_reserve_vcc 1
		.amdhsa_float_round_mode_32 0
		.amdhsa_float_round_mode_16_64 0
		.amdhsa_float_denorm_mode_32 3
		.amdhsa_float_denorm_mode_16_64 3
		.amdhsa_fp16_overflow 0
		.amdhsa_workgroup_processor_mode 1
		.amdhsa_memory_ordered 1
		.amdhsa_forward_progress 0
		.amdhsa_round_robin_scheduling 0
		.amdhsa_exception_fp_ieee_invalid_op 0
		.amdhsa_exception_fp_denorm_src 0
		.amdhsa_exception_fp_ieee_div_zero 0
		.amdhsa_exception_fp_ieee_overflow 0
		.amdhsa_exception_fp_ieee_underflow 0
		.amdhsa_exception_fp_ieee_inexact 0
		.amdhsa_exception_int_div_zero 0
	.end_amdhsa_kernel
	.text
.Lfunc_end0:
	.size	bluestein_single_fwd_len2700_dim1_dp_op_CI_CI, .Lfunc_end0-bluestein_single_fwd_len2700_dim1_dp_op_CI_CI
                                        ; -- End function
	.section	.AMDGPU.csdata,"",@progbits
; Kernel info:
; codeLenInByte = 43724
; NumSgprs: 36
; NumVgprs: 256
; ScratchSize: 1760
; MemoryBound: 0
; FloatMode: 240
; IeeeMode: 1
; LDSByteSize: 43200 bytes/workgroup (compile time only)
; SGPRBlocks: 4
; VGPRBlocks: 31
; NumSGPRsForWavesPerEU: 36
; NumVGPRsForWavesPerEU: 256
; Occupancy: 3
; WaveLimiterHint : 1
; COMPUTE_PGM_RSRC2:SCRATCH_EN: 1
; COMPUTE_PGM_RSRC2:USER_SGPR: 2
; COMPUTE_PGM_RSRC2:TRAP_HANDLER: 0
; COMPUTE_PGM_RSRC2:TGID_X_EN: 1
; COMPUTE_PGM_RSRC2:TGID_Y_EN: 0
; COMPUTE_PGM_RSRC2:TGID_Z_EN: 0
; COMPUTE_PGM_RSRC2:TIDIG_COMP_CNT: 0
	.text
	.p2alignl 7, 3214868480
	.fill 96, 4, 3214868480
	.type	__hip_cuid_d3480c5f50abbea3,@object ; @__hip_cuid_d3480c5f50abbea3
	.section	.bss,"aw",@nobits
	.globl	__hip_cuid_d3480c5f50abbea3
__hip_cuid_d3480c5f50abbea3:
	.byte	0                               ; 0x0
	.size	__hip_cuid_d3480c5f50abbea3, 1

	.ident	"AMD clang version 19.0.0git (https://github.com/RadeonOpenCompute/llvm-project roc-6.4.0 25133 c7fe45cf4b819c5991fe208aaa96edf142730f1d)"
	.section	".note.GNU-stack","",@progbits
	.addrsig
	.addrsig_sym __hip_cuid_d3480c5f50abbea3
	.amdgpu_metadata
---
amdhsa.kernels:
  - .args:
      - .actual_access:  read_only
        .address_space:  global
        .offset:         0
        .size:           8
        .value_kind:     global_buffer
      - .actual_access:  read_only
        .address_space:  global
        .offset:         8
        .size:           8
        .value_kind:     global_buffer
      - .actual_access:  read_only
        .address_space:  global
        .offset:         16
        .size:           8
        .value_kind:     global_buffer
      - .actual_access:  read_only
        .address_space:  global
        .offset:         24
        .size:           8
        .value_kind:     global_buffer
      - .actual_access:  read_only
        .address_space:  global
        .offset:         32
        .size:           8
        .value_kind:     global_buffer
      - .offset:         40
        .size:           8
        .value_kind:     by_value
      - .address_space:  global
        .offset:         48
        .size:           8
        .value_kind:     global_buffer
      - .address_space:  global
        .offset:         56
        .size:           8
        .value_kind:     global_buffer
      - .address_space:  global
        .offset:         64
        .size:           8
        .value_kind:     global_buffer
      - .address_space:  global
        .offset:         72
        .size:           8
        .value_kind:     global_buffer
      - .offset:         80
        .size:           4
        .value_kind:     by_value
      - .address_space:  global
        .offset:         88
        .size:           8
        .value_kind:     global_buffer
      - .address_space:  global
        .offset:         96
        .size:           8
        .value_kind:     global_buffer
    .group_segment_fixed_size: 43200
    .kernarg_segment_align: 8
    .kernarg_segment_size: 104
    .language:       OpenCL C
    .language_version:
      - 2
      - 0
    .max_flat_workgroup_size: 90
    .name:           bluestein_single_fwd_len2700_dim1_dp_op_CI_CI
    .private_segment_fixed_size: 1760
    .sgpr_count:     36
    .sgpr_spill_count: 0
    .symbol:         bluestein_single_fwd_len2700_dim1_dp_op_CI_CI.kd
    .uniform_work_group_size: 1
    .uses_dynamic_stack: false
    .vgpr_count:     256
    .vgpr_spill_count: 447
    .wavefront_size: 32
    .workgroup_processor_mode: 1
amdhsa.target:   amdgcn-amd-amdhsa--gfx1201
amdhsa.version:
  - 1
  - 2
...

	.end_amdgpu_metadata
